;; amdgpu-corpus repo=ROCm/rocFFT kind=compiled arch=gfx1201 opt=O3
	.text
	.amdgcn_target "amdgcn-amd-amdhsa--gfx1201"
	.amdhsa_code_object_version 6
	.protected	bluestein_single_back_len663_dim1_dp_op_CI_CI ; -- Begin function bluestein_single_back_len663_dim1_dp_op_CI_CI
	.globl	bluestein_single_back_len663_dim1_dp_op_CI_CI
	.p2align	8
	.type	bluestein_single_back_len663_dim1_dp_op_CI_CI,@function
bluestein_single_back_len663_dim1_dp_op_CI_CI: ; @bluestein_single_back_len663_dim1_dp_op_CI_CI
; %bb.0:
	s_load_b128 s[8:11], s[0:1], 0x28
	v_mul_u32_u24_e32 v1, 0x506, v0
	s_mov_b32 s2, exec_lo
	v_mov_b32_e32 v4, 0
	s_delay_alu instid0(VALU_DEP_2) | instskip(NEXT) | instid1(VALU_DEP_1)
	v_lshrrev_b32_e32 v1, 16, v1
	v_add_nc_u32_e32 v3, ttmp9, v1
	s_delay_alu instid0(VALU_DEP_1)
	v_mov_b32_e32 v2, v3
	scratch_store_b64 off, v[2:3], off offset:4 ; 8-byte Folded Spill
	s_wait_kmcnt 0x0
	v_cmpx_gt_u64_e64 s[8:9], v[3:4]
	s_cbranch_execz .LBB0_23
; %bb.1:
	s_clause 0x1
	s_load_b64 s[8:9], s[0:1], 0x0
	s_load_b64 s[12:13], s[0:1], 0x38
	v_mul_lo_u16 v1, v1, 51
	s_delay_alu instid0(VALU_DEP_1) | instskip(NEXT) | instid1(VALU_DEP_1)
	v_sub_nc_u16 v0, v0, v1
	v_and_b32_e32 v1, 0xffff, v0
	v_cmp_gt_u16_e32 vcc_lo, 39, v0
	s_delay_alu instid0(VALU_DEP_2)
	v_lshlrev_b32_e32 v255, 4, v1
	scratch_store_b32 off, v1, off          ; 4-byte Folded Spill
	s_and_saveexec_b32 s3, vcc_lo
	s_cbranch_execz .LBB0_3
; %bb.2:
	s_clause 0x1
	scratch_load_b64 v[0:1], off, off offset:4
	scratch_load_b32 v4, off, off
	s_load_b64 s[4:5], s[0:1], 0x18
	s_wait_kmcnt 0x0
	s_load_b128 s[4:7], s[4:5], 0x0
	s_wait_loadcnt 0x0
	s_wait_kmcnt 0x0
	v_mad_co_u64_u32 v[32:33], null, s4, v4, 0
	s_delay_alu instid0(VALU_DEP_1) | instskip(NEXT) | instid1(VALU_DEP_1)
	v_dual_mov_b32 v2, v0 :: v_dual_mov_b32 v1, v33
	v_mad_co_u64_u32 v[16:17], null, s6, v2, 0
	s_delay_alu instid0(VALU_DEP_1) | instskip(NEXT) | instid1(VALU_DEP_1)
	v_mov_b32_e32 v0, v17
	v_mad_co_u64_u32 v[2:3], null, s7, v2, v[0:1]
	s_delay_alu instid0(VALU_DEP_1)
	v_mov_b32_e32 v17, v2
	v_mad_co_u64_u32 v[18:19], null, s5, v4, v[1:2]
	s_mul_u64 s[4:5], s[4:5], 0x270
	s_clause 0x3
	global_load_b128 v[0:3], v255, s[8:9]
	global_load_b128 v[4:7], v255, s[8:9] offset:624
	global_load_b128 v[8:11], v255, s[8:9] offset:1248
	global_load_b128 v[12:15], v255, s[8:9] offset:1872
	v_lshlrev_b64_e32 v[34:35], 4, v[16:17]
	v_mov_b32_e32 v33, v18
	s_clause 0x3
	global_load_b128 v[16:19], v255, s[8:9] offset:2496
	global_load_b128 v[20:23], v255, s[8:9] offset:3120
	;; [unrolled: 1-line block ×4, first 2 shown]
	v_add_co_u32 v42, s2, s10, v34
	s_delay_alu instid0(VALU_DEP_1)
	v_add_co_ci_u32_e64 v43, s2, s11, v35, s2
	v_lshlrev_b64_e32 v[40:41], 4, v[32:33]
	s_clause 0x1
	global_load_b128 v[32:35], v255, s[8:9] offset:4992
	global_load_b128 v[36:39], v255, s[8:9] offset:5616
	v_add_co_u32 v56, s2, v42, v40
	s_wait_alu 0xf1ff
	v_add_co_ci_u32_e64 v57, s2, v43, v41, s2
	s_clause 0x1
	global_load_b128 v[40:43], v255, s[8:9] offset:6240
	global_load_b128 v[44:47], v255, s[8:9] offset:6864
	s_wait_alu 0xfffe
	v_add_co_u32 v60, s2, v56, s4
	s_wait_alu 0xf1ff
	v_add_co_ci_u32_e64 v61, s2, s5, v57, s2
	s_clause 0x1
	global_load_b128 v[48:51], v255, s[8:9] offset:7488
	global_load_b128 v[52:55], v255, s[8:9] offset:8112
	v_add_co_u32 v64, s2, v60, s4
	s_wait_alu 0xf1ff
	v_add_co_ci_u32_e64 v65, s2, s5, v61, s2
	s_clause 0x1
	global_load_b128 v[56:59], v[56:57], off
	global_load_b128 v[60:63], v[60:61], off
	v_add_co_u32 v68, s2, v64, s4
	s_wait_alu 0xf1ff
	v_add_co_ci_u32_e64 v69, s2, s5, v65, s2
	s_delay_alu instid0(VALU_DEP_2) | instskip(SKIP_1) | instid1(VALU_DEP_2)
	v_add_co_u32 v72, s2, v68, s4
	s_wait_alu 0xf1ff
	v_add_co_ci_u32_e64 v73, s2, s5, v69, s2
	s_clause 0x1
	global_load_b128 v[64:67], v[64:65], off
	global_load_b128 v[68:71], v[68:69], off
	v_add_co_u32 v76, s2, v72, s4
	s_wait_alu 0xf1ff
	v_add_co_ci_u32_e64 v77, s2, s5, v73, s2
	global_load_b128 v[72:75], v[72:73], off
	v_add_co_u32 v80, s2, v76, s4
	s_wait_alu 0xf1ff
	v_add_co_ci_u32_e64 v81, s2, s5, v77, s2
	;; [unrolled: 4-line block ×12, first 2 shown]
	s_clause 0x1
	global_load_b128 v[116:119], v255, s[8:9] offset:8736
	global_load_b128 v[120:123], v255, s[8:9] offset:9360
	global_load_b128 v[124:127], v[124:125], off
	global_load_b128 v[128:131], v255, s[8:9] offset:9984
	global_load_b128 v[132:135], v[132:133], off
	s_wait_loadcnt 0x13
	v_mul_f64_e32 v[136:137], v[58:59], v[2:3]
	v_mul_f64_e32 v[2:3], v[56:57], v[2:3]
	s_wait_loadcnt 0x12
	v_mul_f64_e32 v[138:139], v[62:63], v[6:7]
	v_mul_f64_e32 v[6:7], v[60:61], v[6:7]
	;; [unrolled: 3-line block ×14, first 2 shown]
	v_fma_f64 v[54:55], v[56:57], v[0:1], v[136:137]
	v_fma_f64 v[56:57], v[58:59], v[0:1], -v[2:3]
	v_fma_f64 v[0:1], v[60:61], v[4:5], v[138:139]
	v_fma_f64 v[2:3], v[62:63], v[4:5], -v[6:7]
	s_wait_loadcnt 0x4
	v_mul_f64_e32 v[166:167], v[114:115], v[118:119]
	v_mul_f64_e32 v[118:119], v[112:113], v[118:119]
	s_wait_loadcnt 0x2
	v_mul_f64_e32 v[168:169], v[126:127], v[122:123]
	v_mul_f64_e32 v[122:123], v[124:125], v[122:123]
	;; [unrolled: 3-line block ×3, first 2 shown]
	v_fma_f64 v[4:5], v[64:65], v[8:9], v[140:141]
	v_fma_f64 v[6:7], v[66:67], v[8:9], -v[10:11]
	v_fma_f64 v[8:9], v[68:69], v[12:13], v[142:143]
	v_fma_f64 v[10:11], v[70:71], v[12:13], -v[14:15]
	v_fma_f64 v[12:13], v[72:73], v[16:17], v[144:145]
	v_fma_f64 v[14:15], v[74:75], v[16:17], -v[18:19]
	v_fma_f64 v[16:17], v[76:77], v[20:21], v[146:147]
	v_fma_f64 v[18:19], v[78:79], v[20:21], -v[22:23]
	v_fma_f64 v[20:21], v[80:81], v[24:25], v[148:149]
	v_fma_f64 v[22:23], v[82:83], v[24:25], -v[26:27]
	v_fma_f64 v[24:25], v[84:85], v[28:29], v[150:151]
	v_fma_f64 v[26:27], v[86:87], v[28:29], -v[30:31]
	v_fma_f64 v[28:29], v[88:89], v[32:33], v[152:153]
	v_fma_f64 v[30:31], v[90:91], v[32:33], -v[34:35]
	v_fma_f64 v[32:33], v[92:93], v[36:37], v[154:155]
	v_fma_f64 v[34:35], v[94:95], v[36:37], -v[38:39]
	v_fma_f64 v[36:37], v[96:97], v[40:41], v[156:157]
	v_fma_f64 v[38:39], v[98:99], v[40:41], -v[42:43]
	v_fma_f64 v[40:41], v[100:101], v[44:45], v[158:159]
	v_fma_f64 v[42:43], v[102:103], v[44:45], -v[46:47]
	v_fma_f64 v[44:45], v[104:105], v[48:49], v[160:161]
	v_fma_f64 v[46:47], v[106:107], v[48:49], -v[50:51]
	v_fma_f64 v[48:49], v[108:109], v[52:53], v[162:163]
	v_fma_f64 v[50:51], v[110:111], v[52:53], -v[164:165]
	v_fma_f64 v[58:59], v[112:113], v[116:117], v[166:167]
	v_fma_f64 v[60:61], v[114:115], v[116:117], -v[118:119]
	v_fma_f64 v[62:63], v[124:125], v[120:121], v[168:169]
	v_fma_f64 v[64:65], v[126:127], v[120:121], -v[122:123]
	v_fma_f64 v[66:67], v[132:133], v[128:129], v[170:171]
	v_fma_f64 v[68:69], v[134:135], v[128:129], -v[130:131]
	ds_store_b128 v255, v[54:57]
	ds_store_b128 v255, v[0:3] offset:624
	ds_store_b128 v255, v[4:7] offset:1248
	;; [unrolled: 1-line block ×16, first 2 shown]
.LBB0_3:
	s_or_b32 exec_lo, exec_lo, s3
	s_clause 0x1
	s_load_b64 s[4:5], s[0:1], 0x20
	s_load_b64 s[2:3], s[0:1], 0x8
	global_wb scope:SCOPE_SE
	s_wait_storecnt_dscnt 0x0
	s_wait_kmcnt 0x0
	s_barrier_signal -1
	s_barrier_wait -1
	global_inv scope:SCOPE_SE
                                        ; implicit-def: $vgpr8_vgpr9
                                        ; implicit-def: $vgpr24_vgpr25
                                        ; implicit-def: $vgpr28_vgpr29
                                        ; implicit-def: $vgpr32_vgpr33
                                        ; implicit-def: $vgpr36_vgpr37
                                        ; implicit-def: $vgpr40_vgpr41
                                        ; implicit-def: $vgpr44_vgpr45
                                        ; implicit-def: $vgpr48_vgpr49
                                        ; implicit-def: $vgpr56_vgpr57
                                        ; implicit-def: $vgpr60_vgpr61
                                        ; implicit-def: $vgpr64_vgpr65
                                        ; implicit-def: $vgpr68_vgpr69
                                        ; implicit-def: $vgpr72_vgpr73
                                        ; implicit-def: $vgpr52_vgpr53
                                        ; implicit-def: $vgpr20_vgpr21
                                        ; implicit-def: $vgpr16_vgpr17
                                        ; implicit-def: $vgpr12_vgpr13
	s_and_saveexec_b32 s0, vcc_lo
	s_cbranch_execz .LBB0_5
; %bb.4:
	ds_load_b128 v[8:11], v255
	ds_load_b128 v[24:27], v255 offset:624
	ds_load_b128 v[28:31], v255 offset:1248
	;; [unrolled: 1-line block ×16, first 2 shown]
.LBB0_5:
	s_wait_alu 0xfffe
	s_or_b32 exec_lo, exec_lo, s0
	s_wait_dscnt 0x0
	v_add_f64_e64 v[170:171], v[26:27], -v[14:15]
	s_mov_b32 s0, 0x5d8e7cdc
	s_mov_b32 s1, 0xbfd71e95
	v_add_f64_e32 v[164:165], v[24:25], v[12:13]
	v_add_f64_e64 v[106:107], v[30:31], -v[18:19]
	s_mov_b32 s6, 0x370991
	s_mov_b32 s10, 0x2a9d6da3
	;; [unrolled: 1-line block ×4, first 2 shown]
	v_add_f64_e32 v[76:77], v[28:29], v[16:17]
	v_add_f64_e64 v[179:180], v[24:25], -v[12:13]
	v_add_f64_e64 v[88:89], v[28:29], -v[16:17]
	s_mov_b32 s14, 0x75d4884
	s_mov_b32 s15, 0x3fe7a5f6
	v_add_f64_e32 v[174:175], v[26:27], v[14:15]
	v_add_f64_e32 v[84:85], v[30:31], v[18:19]
	v_add_f64_e64 v[110:111], v[34:35], -v[22:23]
	s_mov_b32 s18, 0x7c9e640b
	s_mov_b32 s19, 0xbfeca52d
	v_add_f64_e32 v[80:81], v[32:33], v[20:21]
	s_mov_b32 s16, 0x2b2883cd
	s_mov_b32 s17, 0x3fdc86fa
	v_add_f64_e64 v[108:109], v[32:33], -v[20:21]
	v_add_f64_e32 v[94:95], v[34:35], v[22:23]
	v_add_f64_e64 v[122:123], v[38:39], -v[54:55]
	s_mov_b32 s22, 0xeb564b22
	s_mov_b32 s23, 0xbfefdd0d
	v_add_f64_e32 v[90:91], v[36:37], v[52:53]
	s_mov_b32 s20, 0x3259b75e
	s_mov_b32 s21, 0x3fb79ee6
	v_add_f64_e64 v[120:121], v[36:37], -v[52:53]
	v_add_f64_e32 v[112:113], v[38:39], v[54:55]
	v_add_f64_e64 v[150:151], v[42:43], -v[74:75]
	s_mov_b32 s36, 0x923c349f
	s_mov_b32 s37, 0x3feec746
	;; [unrolled: 1-line block ×4, first 2 shown]
	v_add_f64_e32 v[116:117], v[40:41], v[72:73]
	s_wait_alu 0xfffe
	v_mul_f64_e32 v[166:167], s[0:1], v[170:171]
	s_mov_b32 s24, 0xc61f0d01
	s_mov_b32 s25, 0xbfd183b1
	v_add_f64_e64 v[136:137], v[40:41], -v[72:73]
	v_mul_f64_e32 v[2:3], s[10:11], v[106:107]
	v_add_f64_e32 v[128:129], v[42:43], v[74:75]
	v_add_f64_e64 v[160:161], v[46:47], -v[70:71]
	s_mov_b32 s42, 0x6c9a05f6
	s_mov_b32 s43, 0xbfe9895b
	v_add_f64_e32 v[124:125], v[44:45], v[68:69]
	v_mul_f64_e32 v[177:178], s[0:1], v[179:180]
	v_mul_f64_e32 v[4:5], s[10:11], v[88:89]
	s_mov_b32 s26, 0x6ed5f1bb
	s_mov_b32 s27, 0xbfe348c8
	v_add_f64_e64 v[152:153], v[44:45], -v[68:69]
	v_add_f64_e32 v[138:139], v[46:47], v[70:71]
	v_add_f64_e64 v[168:169], v[50:51], -v[66:67]
	s_mov_b32 s40, 0x4363dd80
	s_mov_b32 s41, 0x3fe0d888
	;; [unrolled: 1-line block ×4, first 2 shown]
	v_add_f64_e32 v[132:133], v[48:49], v[64:65]
	v_add_f64_e64 v[158:159], v[48:49], -v[64:65]
	s_mov_b32 s30, 0x910ea3b9
	s_mov_b32 s31, 0xbfeb34fa
	v_add_f64_e32 v[146:147], v[50:51], v[66:67]
	v_add_f64_e64 v[172:173], v[58:59], -v[62:63]
	s_mov_b32 s44, 0xacd6c6b4
	s_mov_b32 s45, 0xbfc7851a
	;; [unrolled: 4-line block ×3, first 2 shown]
	v_add_f64_e32 v[154:155], v[58:59], v[62:63]
	v_mul_f64_e32 v[114:115], s[10:11], v[170:171]
	v_mul_f64_e32 v[181:182], s[22:23], v[106:107]
	;; [unrolled: 1-line block ×4, first 2 shown]
	v_fma_f64 v[0:1], v[164:165], s[6:7], v[166:167]
	v_mul_f64_e32 v[183:184], s[42:43], v[110:111]
	v_mul_f64_e32 v[189:190], s[42:43], v[108:109]
	;; [unrolled: 1-line block ×3, first 2 shown]
	scratch_store_b64 off, v[2:3], off offset:44 ; 8-byte Folded Spill
	v_fma_f64 v[2:3], v[76:77], s[14:15], v[2:3]
	v_mul_f64_e32 v[197:198], s[44:45], v[120:121]
	v_mul_f64_e32 v[195:196], s[40:41], v[150:151]
	;; [unrolled: 1-line block ×4, first 2 shown]
	s_mov_b32 s47, 0x3feca52d
	scratch_store_b64 off, v[4:5], off offset:76 ; 8-byte Folded Spill
	v_fma_f64 v[4:5], v[84:85], s[14:15], -v[4:5]
	s_mov_b32 s46, s18
	v_mul_f64_e32 v[217:218], s[36:37], v[152:153]
	s_mov_b32 s49, 0x3fd71e95
	v_mul_f64_e32 v[191:192], s[46:47], v[168:169]
	;; [unrolled: 2-line block ×3, first 2 shown]
	v_mul_f64_e32 v[193:194], s[42:43], v[106:107]
	v_mul_f64_e32 v[130:131], s[18:19], v[179:180]
	;; [unrolled: 1-line block ×5, first 2 shown]
	s_mov_b32 s51, 0x3fc7851a
	s_mov_b32 s50, s44
	v_mul_f64_e32 v[199:200], s[48:49], v[172:173]
	v_mul_f64_e32 v[203:204], s[50:51], v[110:111]
	v_mul_f64_e32 v[219:220], s[50:51], v[108:109]
	v_mul_f64_e32 v[205:206], s[36:37], v[122:123]
	v_mul_f64_e32 v[156:157], s[44:45], v[162:163]
	v_mul_f64_e32 v[215:216], s[48:49], v[162:163]
	v_mul_f64_e32 v[235:236], s[36:37], v[120:121]
	s_mov_b32 s53, 0x3fe58eea
	s_mov_b32 s52, s10
	v_fma_f64 v[6:7], v[76:77], s[20:21], v[181:182]
	v_mul_f64_e32 v[231:232], s[52:53], v[150:151]
	v_fma_f64 v[78:79], v[84:85], s[20:21], -v[187:188]
	v_add_f64_e32 v[0:1], v[8:9], v[0:1]
	v_mul_f64_e32 v[251:252], s[52:53], v[136:137]
	v_mul_f64_e32 v[247:248], s[0:1], v[160:161]
	;; [unrolled: 1-line block ×15, first 2 shown]
	s_mov_b32 s55, 0x3fe9895b
	s_mov_b32 s54, s42
	v_fma_f64 v[82:83], v[76:77], s[26:27], v[193:194]
	v_mul_f64_e32 v[245:246], s[54:55], v[168:169]
	v_fma_f64 v[86:87], v[84:85], s[26:27], -v[209:210]
	v_add_f64_e32 v[0:1], v[2:3], v[0:1]
	v_fma_f64 v[2:3], v[174:175], s[6:7], -v[177:178]
	s_delay_alu instid0(VALU_DEP_1) | instskip(NEXT) | instid1(VALU_DEP_1)
	v_add_f64_e32 v[2:3], v[10:11], v[2:3]
	v_add_f64_e32 v[2:3], v[4:5], v[2:3]
	v_mul_f64_e32 v[4:5], s[18:19], v[110:111]
	scratch_store_b64 off, v[4:5], off offset:60 ; 8-byte Folded Spill
	v_fma_f64 v[4:5], v[80:81], s[16:17], v[4:5]
	s_delay_alu instid0(VALU_DEP_1) | instskip(SKIP_3) | instid1(VALU_DEP_1)
	v_add_f64_e32 v[0:1], v[4:5], v[0:1]
	v_mul_f64_e32 v[4:5], s[18:19], v[108:109]
	scratch_store_b64 off, v[4:5], off offset:108 ; 8-byte Folded Spill
	v_fma_f64 v[4:5], v[94:95], s[16:17], -v[4:5]
	v_add_f64_e32 v[2:3], v[4:5], v[2:3]
	v_mul_f64_e32 v[4:5], s[22:23], v[122:123]
	scratch_store_b64 off, v[4:5], off offset:92 ; 8-byte Folded Spill
	v_fma_f64 v[4:5], v[90:91], s[20:21], v[4:5]
	s_delay_alu instid0(VALU_DEP_1) | instskip(SKIP_3) | instid1(VALU_DEP_1)
	v_add_f64_e32 v[0:1], v[4:5], v[0:1]
	v_mul_f64_e32 v[4:5], s[22:23], v[120:121]
	scratch_store_b64 off, v[4:5], off offset:124 ; 8-byte Folded Spill
	v_fma_f64 v[4:5], v[112:113], s[20:21], -v[4:5]
	;; [unrolled: 9-line block ×4, first 2 shown]
	v_add_f64_e32 v[2:3], v[4:5], v[2:3]
	v_mul_f64_e32 v[4:5], s[38:39], v[168:169]
	scratch_store_b64 off, v[4:5], off offset:188 ; 8-byte Folded Spill
	v_fma_f64 v[4:5], v[132:133], s[30:31], v[4:5]
	s_delay_alu instid0(VALU_DEP_1) | instskip(SKIP_1) | instid1(VALU_DEP_1)
	v_add_f64_e32 v[0:1], v[4:5], v[0:1]
	v_fma_f64 v[4:5], v[146:147], s[30:31], -v[148:149]
	v_add_f64_e32 v[2:3], v[4:5], v[2:3]
	v_mul_f64_e32 v[4:5], s[44:45], v[172:173]
	scratch_store_b64 off, v[4:5], off offset:220 ; 8-byte Folded Spill
	v_fma_f64 v[4:5], v[142:143], s[34:35], v[4:5]
	s_delay_alu instid0(VALU_DEP_1) | instskip(SKIP_1) | instid1(VALU_DEP_1)
	v_add_f64_e32 v[0:1], v[4:5], v[0:1]
	v_fma_f64 v[4:5], v[154:155], s[34:35], -v[156:157]
	v_add_f64_e32 v[2:3], v[4:5], v[2:3]
	v_fma_f64 v[4:5], v[164:165], s[14:15], v[114:115]
	scratch_store_b128 off, v[0:3], off offset:12 ; 16-byte Folded Spill
	v_add_f64_e32 v[4:5], v[8:9], v[4:5]
	s_delay_alu instid0(VALU_DEP_1) | instskip(SKIP_1) | instid1(VALU_DEP_1)
	v_add_f64_e32 v[4:5], v[6:7], v[4:5]
	v_fma_f64 v[6:7], v[174:175], s[14:15], -v[118:119]
	v_add_f64_e32 v[6:7], v[10:11], v[6:7]
	s_delay_alu instid0(VALU_DEP_1) | instskip(SKIP_1) | instid1(VALU_DEP_1)
	v_add_f64_e32 v[6:7], v[78:79], v[6:7]
	v_fma_f64 v[78:79], v[80:81], s[26:27], v[183:184]
	v_add_f64_e32 v[4:5], v[78:79], v[4:5]
	v_fma_f64 v[78:79], v[94:95], s[26:27], -v[189:190]
	s_delay_alu instid0(VALU_DEP_1) | instskip(SKIP_1) | instid1(VALU_DEP_1)
	v_add_f64_e32 v[6:7], v[78:79], v[6:7]
	v_fma_f64 v[78:79], v[90:91], s[34:35], v[185:186]
	v_add_f64_e32 v[4:5], v[78:79], v[4:5]
	v_fma_f64 v[78:79], v[112:113], s[34:35], -v[197:198]
	;; [unrolled: 5-line block ×6, first 2 shown]
	s_delay_alu instid0(VALU_DEP_1)
	v_add_f64_e32 v[2:3], v[78:79], v[6:7]
	v_fma_f64 v[78:79], v[164:165], s[16:17], v[126:127]
	scratch_store_b128 off, v[0:3], off offset:28 ; 16-byte Folded Spill
	v_add_f64_e32 v[78:79], v[8:9], v[78:79]
	global_wb scope:SCOPE_SE
	s_wait_storecnt 0x0
	s_barrier_signal -1
	s_barrier_wait -1
	global_inv scope:SCOPE_SE
	v_add_f64_e32 v[78:79], v[82:83], v[78:79]
	v_fma_f64 v[82:83], v[174:175], s[16:17], -v[130:131]
	s_delay_alu instid0(VALU_DEP_1) | instskip(NEXT) | instid1(VALU_DEP_1)
	v_add_f64_e32 v[82:83], v[10:11], v[82:83]
	v_add_f64_e32 v[82:83], v[86:87], v[82:83]
	v_fma_f64 v[86:87], v[80:81], s[34:35], v[203:204]
	s_delay_alu instid0(VALU_DEP_1) | instskip(SKIP_1) | instid1(VALU_DEP_1)
	v_add_f64_e32 v[78:79], v[86:87], v[78:79]
	v_fma_f64 v[86:87], v[94:95], s[34:35], -v[219:220]
	v_add_f64_e32 v[82:83], v[86:87], v[82:83]
	v_fma_f64 v[86:87], v[90:91], s[24:25], v[205:206]
	s_delay_alu instid0(VALU_DEP_1) | instskip(SKIP_1) | instid1(VALU_DEP_1)
	v_add_f64_e32 v[78:79], v[86:87], v[78:79]
	v_fma_f64 v[86:87], v[112:113], s[24:25], -v[235:236]
	;; [unrolled: 5-line block ×3, first 2 shown]
	v_add_f64_e32 v[82:83], v[86:87], v[82:83]
	v_fma_f64 v[86:87], v[124:125], s[6:7], v[247:248]
	s_delay_alu instid0(VALU_DEP_1) | instskip(SKIP_1) | instid1(VALU_DEP_1)
	v_add_f64_e32 v[78:79], v[86:87], v[78:79]
	v_mul_f64_e32 v[86:87], s[0:1], v[152:153]
	v_fma_f64 v[92:93], v[138:139], s[6:7], -v[86:87]
	s_delay_alu instid0(VALU_DEP_1) | instskip(SKIP_1) | instid1(VALU_DEP_1)
	v_add_f64_e32 v[82:83], v[92:93], v[82:83]
	v_fma_f64 v[92:93], v[132:133], s[20:21], v[233:234]
	v_add_f64_e32 v[78:79], v[92:93], v[78:79]
	v_fma_f64 v[92:93], v[146:147], s[20:21], -v[241:242]
	s_delay_alu instid0(VALU_DEP_1) | instskip(SKIP_1) | instid1(VALU_DEP_1)
	v_add_f64_e32 v[82:83], v[92:93], v[82:83]
	v_fma_f64 v[92:93], v[142:143], s[30:31], v[227:228]
	v_add_f64_e32 v[96:97], v[92:93], v[78:79]
	v_fma_f64 v[78:79], v[154:155], s[30:31], -v[239:240]
	v_fma_f64 v[92:93], v[84:85], s[34:35], -v[225:226]
	s_delay_alu instid0(VALU_DEP_2) | instskip(SKIP_2) | instid1(VALU_DEP_2)
	v_add_f64_e32 v[98:99], v[78:79], v[82:83]
	v_fma_f64 v[78:79], v[164:165], s[20:21], v[134:135]
	v_fma_f64 v[82:83], v[76:77], s[34:35], v[213:214]
	v_add_f64_e32 v[78:79], v[8:9], v[78:79]
	s_delay_alu instid0(VALU_DEP_1) | instskip(SKIP_1) | instid1(VALU_DEP_1)
	v_add_f64_e32 v[78:79], v[82:83], v[78:79]
	v_fma_f64 v[82:83], v[174:175], s[20:21], -v[140:141]
	v_add_f64_e32 v[82:83], v[10:11], v[82:83]
	s_delay_alu instid0(VALU_DEP_1) | instskip(SKIP_1) | instid1(VALU_DEP_1)
	v_add_f64_e32 v[82:83], v[92:93], v[82:83]
	v_fma_f64 v[92:93], v[80:81], s[24:25], v[221:222]
	v_add_f64_e32 v[78:79], v[92:93], v[78:79]
	v_fma_f64 v[92:93], v[94:95], s[24:25], -v[237:238]
	s_delay_alu instid0(VALU_DEP_1) | instskip(SKIP_1) | instid1(VALU_DEP_1)
	v_add_f64_e32 v[82:83], v[92:93], v[82:83]
	v_fma_f64 v[92:93], v[90:91], s[6:7], v[223:224]
	v_add_f64_e32 v[78:79], v[92:93], v[78:79]
	v_fma_f64 v[92:93], v[112:113], s[6:7], -v[249:250]
	s_delay_alu instid0(VALU_DEP_1) | instskip(SKIP_1) | instid1(VALU_DEP_1)
	v_add_f64_e32 v[92:93], v[92:93], v[82:83]
	v_fma_f64 v[82:83], v[116:117], s[16:17], v[229:230]
	v_add_f64_e32 v[100:101], v[82:83], v[78:79]
	v_mul_f64_e32 v[82:83], s[18:19], v[136:137]
	s_delay_alu instid0(VALU_DEP_1) | instskip(NEXT) | instid1(VALU_DEP_1)
	v_fma_f64 v[78:79], v[128:129], s[16:17], -v[82:83]
	v_add_f64_e32 v[102:103], v[78:79], v[92:93]
	v_mul_f64_e32 v[78:79], s[38:39], v[160:161]
	s_delay_alu instid0(VALU_DEP_1) | instskip(NEXT) | instid1(VALU_DEP_1)
	v_fma_f64 v[92:93], v[124:125], s[30:31], v[78:79]
	v_add_f64_e32 v[100:101], v[92:93], v[100:101]
	v_mul_f64_e32 v[92:93], s[38:39], v[152:153]
	s_delay_alu instid0(VALU_DEP_1) | instskip(NEXT) | instid1(VALU_DEP_1)
	v_fma_f64 v[104:105], v[138:139], s[30:31], -v[92:93]
	v_add_f64_e32 v[102:103], v[104:105], v[102:103]
	v_fma_f64 v[104:105], v[132:133], s[26:27], v[245:246]
	s_delay_alu instid0(VALU_DEP_1) | instskip(SKIP_1) | instid1(VALU_DEP_1)
	v_add_f64_e32 v[100:101], v[104:105], v[100:101]
	v_mul_f64_e32 v[104:105], s[54:55], v[158:159]
	v_fma_f64 v[243:244], v[146:147], s[26:27], -v[104:105]
	s_delay_alu instid0(VALU_DEP_1) | instskip(SKIP_1) | instid1(VALU_DEP_1)
	v_add_f64_e32 v[102:103], v[243:244], v[102:103]
	v_mul_f64_e32 v[243:244], s[52:53], v[172:173]
	v_fma_f64 v[253:254], v[142:143], s[14:15], v[243:244]
	s_delay_alu instid0(VALU_DEP_1) | instskip(SKIP_1) | instid1(VALU_DEP_1)
	v_add_f64_e32 v[100:101], v[253:254], v[100:101]
	v_mul_f64_e32 v[253:254], s[52:53], v[162:163]
	v_fma_f64 v[144:145], v[154:155], s[14:15], -v[253:254]
	s_delay_alu instid0(VALU_DEP_1)
	v_add_f64_e32 v[102:103], v[144:145], v[102:103]
	s_and_saveexec_b32 s33, vcc_lo
	s_cbranch_execz .LBB0_7
; %bb.6:
	v_add_f64_e32 v[24:25], v[8:9], v[24:25]
	v_add_f64_e32 v[26:27], v[10:11], v[26:27]
	s_mov_b32 s57, 0x3fefdd0d
	s_mov_b32 s56, s22
	scratch_load_b64 v[0:1], off, off offset:204 th:TH_LOAD_LU ; 8-byte Folded Reload
	v_mul_f64_e32 v[144:145], s[56:57], v[172:173]
	v_add_f64_e32 v[24:25], v[24:25], v[28:29]
	v_add_f64_e32 v[26:27], v[26:27], v[30:31]
	v_mul_f64_e32 v[28:29], s[24:25], v[174:175]
	s_delay_alu instid0(VALU_DEP_3) | instskip(NEXT) | instid1(VALU_DEP_3)
	v_add_f64_e32 v[24:25], v[24:25], v[32:33]
	v_add_f64_e32 v[26:27], v[26:27], v[34:35]
	v_mul_f64_e32 v[34:35], s[20:21], v[164:165]
	s_delay_alu instid0(VALU_DEP_4)
	v_fma_f64 v[30:31], v[179:180], s[36:37], v[28:29]
	v_fma_f64 v[28:29], v[179:180], s[28:29], v[28:29]
	v_mul_f64_e32 v[32:33], s[20:21], v[174:175]
	v_add_f64_e32 v[24:25], v[24:25], v[36:37]
	v_add_f64_e32 v[26:27], v[26:27], v[38:39]
	v_mul_f64_e32 v[36:37], s[16:17], v[174:175]
	v_mul_f64_e32 v[38:39], s[16:17], v[164:165]
	v_add_f64_e64 v[34:35], v[34:35], -v[134:135]
	v_add_f64_e32 v[32:33], v[140:141], v[32:33]
	v_mul_f64_e32 v[140:141], s[20:21], v[154:155]
	v_add_f64_e32 v[24:25], v[24:25], v[40:41]
	v_add_f64_e32 v[26:27], v[26:27], v[42:43]
	v_mul_f64_e32 v[42:43], s[14:15], v[164:165]
	v_add_f64_e32 v[36:37], v[130:131], v[36:37]
	v_add_f64_e64 v[38:39], v[38:39], -v[126:127]
	v_mul_f64_e32 v[40:41], s[14:15], v[174:175]
	v_add_f64_e32 v[34:35], v[8:9], v[34:35]
	v_add_f64_e32 v[32:33], v[10:11], v[32:33]
	;; [unrolled: 1-line block ×4, first 2 shown]
	v_mul_f64_e32 v[46:47], s[44:45], v[170:171]
	v_add_f64_e64 v[42:43], v[42:43], -v[114:115]
	v_mul_f64_e32 v[44:45], s[6:7], v[174:175]
	v_add_f64_e32 v[40:41], v[118:119], v[40:41]
	v_add_f64_e32 v[24:25], v[24:25], v[48:49]
	;; [unrolled: 1-line block ×3, first 2 shown]
	v_mul_f64_e32 v[48:49], s[38:39], v[170:171]
	v_mul_f64_e32 v[50:51], s[42:43], v[170:171]
	v_add_f64_e32 v[44:45], v[177:178], v[44:45]
	v_mul_f64_e32 v[176:177], s[24:25], v[124:125]
	v_add_f64_e32 v[24:25], v[24:25], v[56:57]
	v_add_f64_e32 v[26:27], v[26:27], v[58:59]
	v_fma_f64 v[56:57], v[164:165], s[30:31], v[48:49]
	v_fma_f64 v[48:49], v[164:165], s[30:31], -v[48:49]
	v_fma_f64 v[58:59], v[164:165], s[26:27], v[50:51]
	v_fma_f64 v[50:51], v[164:165], s[26:27], -v[50:51]
	v_add_f64_e64 v[176:177], v[176:177], -v[201:202]
	v_add_f64_e32 v[24:25], v[24:25], v[60:61]
	v_add_f64_e32 v[26:27], v[26:27], v[62:63]
	v_mul_f64_e32 v[62:63], s[6:7], v[164:165]
	v_add_f64_e32 v[56:57], v[8:9], v[56:57]
	v_add_f64_e32 v[48:49], v[8:9], v[48:49]
	;; [unrolled: 1-line block ×6, first 2 shown]
	v_add_f64_e64 v[62:63], v[62:63], -v[166:167]
	v_mul_f64_e32 v[166:167], s[24:25], v[154:155]
	s_delay_alu instid0(VALU_DEP_4) | instskip(NEXT) | instid1(VALU_DEP_4)
	v_add_f64_e32 v[24:25], v[24:25], v[68:69]
	v_add_f64_e32 v[26:27], v[26:27], v[70:71]
	;; [unrolled: 1-line block ×9, first 2 shown]
	v_mul_f64_e32 v[36:37], s[30:31], v[94:95]
	v_add_f64_e32 v[74:75], v[10:11], v[44:45]
	v_add_f64_e32 v[24:25], v[24:25], v[52:53]
	;; [unrolled: 1-line block ×3, first 2 shown]
	v_mul_f64_e32 v[52:53], s[28:29], v[170:171]
	v_fma_f64 v[54:55], v[164:165], s[34:35], v[46:47]
	v_fma_f64 v[46:47], v[164:165], s[34:35], -v[46:47]
	v_fma_f64 v[38:39], v[108:109], s[40:41], v[36:37]
	v_mul_f64_e32 v[170:171], s[28:29], v[172:173]
	v_add_f64_e32 v[20:21], v[24:25], v[20:21]
	v_add_f64_e32 v[22:23], v[26:27], v[22:23]
	v_mul_f64_e32 v[24:25], s[26:27], v[174:175]
	v_fma_f64 v[60:61], v[164:165], s[24:25], v[52:53]
	v_fma_f64 v[52:53], v[164:165], s[24:25], -v[52:53]
	v_add_f64_e32 v[54:55], v[8:9], v[54:55]
	v_add_f64_e32 v[46:47], v[8:9], v[46:47]
	v_mul_f64_e32 v[164:165], s[52:53], v[168:169]
	v_add_f64_e32 v[16:17], v[20:21], v[16:17]
	v_mul_f64_e32 v[20:21], s[30:31], v[174:175]
	v_add_f64_e32 v[18:19], v[22:23], v[18:19]
	v_fma_f64 v[26:27], v[179:180], s[54:55], v[24:25]
	v_add_f64_e32 v[60:61], v[8:9], v[60:61]
	v_add_f64_e32 v[52:53], v[8:9], v[52:53]
	v_fma_f64 v[24:25], v[179:180], s[42:43], v[24:25]
	v_add_f64_e32 v[12:13], v[16:17], v[12:13]
	v_mul_f64_e32 v[16:17], s[34:35], v[174:175]
	v_fma_f64 v[22:23], v[179:180], s[40:41], v[20:21]
	v_fma_f64 v[20:21], v[179:180], s[38:39], v[20:21]
	v_add_f64_e32 v[14:15], v[18:19], v[14:15]
	v_add_f64_e32 v[66:67], v[10:11], v[26:27]
	;; [unrolled: 1-line block ×5, first 2 shown]
	v_mul_f64_e32 v[174:175], s[20:21], v[84:85]
	v_fma_f64 v[18:19], v[179:180], s[50:51], v[16:17]
	v_fma_f64 v[16:17], v[179:180], s[44:45], v[16:17]
	v_add_f64_e32 v[64:65], v[10:11], v[20:21]
	v_mul_f64_e32 v[20:21], s[6:7], v[84:85]
	v_add_f64_e32 v[22:23], v[10:11], v[22:23]
	v_mul_f64_e32 v[178:179], s[30:31], v[116:117]
	;; [unrolled: 2-line block ×3, first 2 shown]
	v_add_f64_e32 v[18:19], v[10:11], v[18:19]
	v_add_f64_e32 v[16:17], v[10:11], v[16:17]
	v_fma_f64 v[8:9], v[88:89], s[0:1], v[20:21]
	v_fma_f64 v[20:21], v[88:89], s[48:49], v[20:21]
	v_add_f64_e64 v[178:179], v[178:179], -v[195:196]
	v_add_f64_e32 v[24:25], v[174:175], v[24:25]
	v_add_f64_e64 v[180:181], v[187:188], -v[181:182]
	v_mul_f64_e32 v[187:188], s[26:27], v[80:81]
	v_mul_f64_e32 v[174:175], s[34:35], v[90:91]
	v_add_f64_e32 v[8:9], v[8:9], v[18:19]
	v_mul_f64_e32 v[18:19], s[48:49], v[106:107]
	v_add_f64_e32 v[16:17], v[20:21], v[16:17]
	v_fma_f64 v[20:21], v[108:109], s[38:39], v[36:37]
	v_fma_f64 v[36:37], v[142:143], s[20:21], -v[144:145]
	v_add_f64_e32 v[26:27], v[180:181], v[26:27]
	v_add_f64_e64 v[182:183], v[187:188], -v[183:184]
	v_add_f64_e64 v[174:175], v[174:175], -v[185:186]
	v_mul_f64_e32 v[180:181], s[34:35], v[80:81]
	v_mul_f64_e32 v[184:185], s[26:27], v[154:155]
	;; [unrolled: 1-line block ×4, first 2 shown]
	v_add_f64_e32 v[8:9], v[38:39], v[8:9]
	v_fma_f64 v[10:11], v[76:77], s[6:7], v[18:19]
	v_mul_f64_e32 v[38:39], s[38:39], v[110:111]
	v_fma_f64 v[18:19], v[76:77], s[6:7], -v[18:19]
	v_add_f64_e32 v[16:17], v[20:21], v[16:17]
	v_add_f64_e32 v[26:27], v[182:183], v[26:27]
	v_mul_f64_e32 v[182:183], s[0:1], v[168:169]
	v_add_f64_e64 v[180:181], v[180:181], -v[203:204]
	v_add_f64_e32 v[10:11], v[10:11], v[54:55]
	v_fma_f64 v[40:41], v[80:81], s[30:31], v[38:39]
	v_add_f64_e32 v[18:19], v[18:19], v[46:47]
	v_fma_f64 v[20:21], v[80:81], s[30:31], -v[38:39]
	v_mul_f64_e32 v[46:47], s[46:47], v[106:107]
	v_mul_f64_e32 v[38:39], s[30:31], v[128:129]
	v_add_f64_e32 v[26:27], v[174:175], v[26:27]
	v_mul_f64_e32 v[174:175], s[6:7], v[124:125]
	v_add_f64_e32 v[10:11], v[40:41], v[10:11]
	v_mul_f64_e32 v[40:41], s[14:15], v[112:113]
	v_add_f64_e32 v[18:19], v[20:21], v[18:19]
	v_add_f64_e32 v[38:39], v[211:212], v[38:39]
	v_add_f64_e32 v[26:27], v[178:179], v[26:27]
	v_mul_f64_e32 v[178:179], s[26:27], v[76:77]
	v_add_f64_e64 v[174:175], v[174:175], -v[247:248]
	v_fma_f64 v[42:43], v[120:121], s[10:11], v[40:41]
	v_fma_f64 v[20:21], v[120:121], s[52:53], v[40:41]
	v_mul_f64_e32 v[40:41], s[34:35], v[112:113]
	v_add_f64_e32 v[26:27], v[176:177], v[26:27]
	v_add_f64_e64 v[178:179], v[178:179], -v[193:194]
	v_mul_f64_e32 v[176:177], s[14:15], v[116:117]
	v_add_f64_e32 v[8:9], v[42:43], v[8:9]
	v_mul_f64_e32 v[42:43], s[52:53], v[122:123]
	v_add_f64_e32 v[16:17], v[20:21], v[16:17]
	v_add_f64_e32 v[40:41], v[197:198], v[40:41]
	;; [unrolled: 1-line block ×3, first 2 shown]
	v_add_f64_e64 v[176:177], v[176:177], -v[231:232]
	v_mul_f64_e32 v[178:179], s[56:57], v[160:161]
	v_fma_f64 v[44:45], v[90:91], s[14:15], v[42:43]
	v_fma_f64 v[20:21], v[90:91], s[14:15], -v[42:43]
	v_mul_f64_e32 v[42:43], s[26:27], v[94:95]
	v_add_f64_e32 v[30:31], v[180:181], v[30:31]
	v_mul_f64_e32 v[180:181], s[6:7], v[146:147]
	v_add_f64_e32 v[10:11], v[44:45], v[10:11]
	;; [unrolled: 2-line block ×3, first 2 shown]
	v_add_f64_e32 v[42:43], v[189:190], v[42:43]
	v_mul_f64_e32 v[188:189], s[24:25], v[84:85]
	s_delay_alu instid0(VALU_DEP_4)
	v_fma_f64 v[54:55], v[136:137], s[54:55], v[44:45]
	v_fma_f64 v[20:21], v[136:137], s[42:43], v[44:45]
	v_mul_f64_e32 v[44:45], s[16:17], v[84:85]
	v_add_f64_e32 v[24:25], v[42:43], v[24:25]
	v_mul_f64_e32 v[42:43], s[16:17], v[146:147]
	v_add_f64_e32 v[8:9], v[54:55], v[8:9]
	;; [unrolled: 2-line block ×3, first 2 shown]
	v_add_f64_e32 v[24:25], v[40:41], v[24:25]
	v_mul_f64_e32 v[40:41], s[16:17], v[132:133]
	v_add_f64_e32 v[42:43], v[207:208], v[42:43]
	v_fma_f64 v[114:115], v[116:117], s[26:27], v[54:55]
	v_fma_f64 v[20:21], v[116:117], s[26:27], -v[54:55]
	v_mul_f64_e32 v[54:55], s[20:21], v[94:95]
	v_add_f64_e32 v[24:25], v[38:39], v[24:25]
	v_add_f64_e64 v[40:41], v[40:41], -v[191:192]
	v_mul_f64_e32 v[38:39], s[6:7], v[154:155]
	v_add_f64_e32 v[10:11], v[114:115], v[10:11]
	v_mul_f64_e32 v[114:115], s[16:17], v[138:139]
	v_add_f64_e32 v[18:19], v[20:21], v[18:19]
	v_add_f64_e32 v[40:41], v[40:41], v[26:27]
	;; [unrolled: 1-line block ×3, first 2 shown]
	s_delay_alu instid0(VALU_DEP_4) | instskip(SKIP_2) | instid1(VALU_DEP_3)
	v_fma_f64 v[118:119], v[152:153], s[18:19], v[114:115]
	v_fma_f64 v[20:21], v[152:153], s[46:47], v[114:115]
	v_mul_f64_e32 v[114:115], s[26:27], v[112:113]
	v_add_f64_e32 v[8:9], v[118:119], v[8:9]
	v_mul_f64_e32 v[118:119], s[46:47], v[160:161]
	s_delay_alu instid0(VALU_DEP_4) | instskip(NEXT) | instid1(VALU_DEP_2)
	v_add_f64_e32 v[16:17], v[20:21], v[16:17]
	v_fma_f64 v[126:127], v[124:125], s[16:17], v[118:119]
	v_fma_f64 v[20:21], v[124:125], s[16:17], -v[118:119]
	v_mul_f64_e32 v[118:119], s[54:55], v[122:123]
	s_delay_alu instid0(VALU_DEP_3) | instskip(SKIP_1) | instid1(VALU_DEP_4)
	v_add_f64_e32 v[10:11], v[126:127], v[10:11]
	v_mul_f64_e32 v[126:127], s[24:25], v[146:147]
	v_add_f64_e32 v[18:19], v[20:21], v[18:19]
	s_delay_alu instid0(VALU_DEP_2) | instskip(SKIP_2) | instid1(VALU_DEP_3)
	v_fma_f64 v[130:131], v[158:159], s[36:37], v[126:127]
	v_fma_f64 v[20:21], v[158:159], s[28:29], v[126:127]
	v_mul_f64_e32 v[126:127], s[6:7], v[128:129]
	v_add_f64_e32 v[8:9], v[130:131], v[8:9]
	v_mul_f64_e32 v[130:131], s[28:29], v[168:169]
	s_delay_alu instid0(VALU_DEP_4) | instskip(SKIP_1) | instid1(VALU_DEP_3)
	v_add_f64_e32 v[16:17], v[20:21], v[16:17]
	v_mul_f64_e32 v[168:169], s[44:45], v[168:169]
	v_fma_f64 v[20:21], v[132:133], s[24:25], -v[130:131]
	v_fma_f64 v[134:135], v[132:133], s[24:25], v[130:131]
	v_mul_f64_e32 v[130:131], s[0:1], v[150:151]
	s_delay_alu instid0(VALU_DEP_3) | instskip(SKIP_1) | instid1(VALU_DEP_4)
	v_add_f64_e32 v[20:21], v[20:21], v[18:19]
	v_fma_f64 v[18:19], v[162:163], s[56:57], v[140:141]
	v_add_f64_e32 v[134:135], v[134:135], v[10:11]
	v_fma_f64 v[10:11], v[162:163], s[22:23], v[140:141]
	v_mul_f64_e32 v[140:141], s[44:45], v[160:161]
	v_mul_f64_e32 v[160:161], s[10:11], v[160:161]
	v_add_f64_e32 v[18:19], v[18:19], v[16:17]
	v_add_f64_e32 v[16:17], v[36:37], v[20:21]
	v_fma_f64 v[20:21], v[88:89], s[18:19], v[44:45]
	v_fma_f64 v[36:37], v[108:109], s[56:57], v[54:55]
	v_add_f64_e32 v[10:11], v[10:11], v[8:9]
	v_fma_f64 v[8:9], v[142:143], s[20:21], v[144:145]
	v_mul_f64_e32 v[144:145], s[14:15], v[146:147]
	v_fma_f64 v[44:45], v[88:89], s[46:47], v[44:45]
	v_add_f64_e32 v[20:21], v[20:21], v[22:23]
	v_fma_f64 v[22:23], v[76:77], s[16:17], v[46:47]
	v_fma_f64 v[46:47], v[76:77], s[16:17], -v[46:47]
	v_add_f64_e32 v[8:9], v[8:9], v[134:135]
	v_mul_f64_e32 v[134:135], s[34:35], v[138:139]
	v_add_f64_e32 v[44:45], v[44:45], v[64:65]
	v_add_f64_e32 v[20:21], v[36:37], v[20:21]
	;; [unrolled: 1-line block ×3, first 2 shown]
	v_mul_f64_e32 v[56:57], s[22:23], v[110:111]
	v_add_f64_e32 v[46:47], v[46:47], v[48:49]
	v_fma_f64 v[48:49], v[108:109], s[22:23], v[54:55]
	v_fma_f64 v[54:55], v[142:143], s[24:25], -v[170:171]
	s_delay_alu instid0(VALU_DEP_4) | instskip(NEXT) | instid1(VALU_DEP_3)
	v_fma_f64 v[36:37], v[80:81], s[20:21], v[56:57]
	v_add_f64_e32 v[44:45], v[48:49], v[44:45]
	v_fma_f64 v[48:49], v[80:81], s[20:21], -v[56:57]
	v_fma_f64 v[56:57], v[142:143], s[16:17], v[172:173]
	s_delay_alu instid0(VALU_DEP_4) | instskip(SKIP_1) | instid1(VALU_DEP_4)
	v_add_f64_e32 v[22:23], v[36:37], v[22:23]
	v_fma_f64 v[36:37], v[120:121], s[42:43], v[114:115]
	v_add_f64_e32 v[46:47], v[48:49], v[46:47]
	v_fma_f64 v[48:49], v[120:121], s[54:55], v[114:115]
	s_delay_alu instid0(VALU_DEP_3) | instskip(SKIP_1) | instid1(VALU_DEP_3)
	v_add_f64_e32 v[20:21], v[36:37], v[20:21]
	v_fma_f64 v[36:37], v[90:91], s[26:27], v[118:119]
	v_add_f64_e32 v[44:45], v[48:49], v[44:45]
	v_fma_f64 v[48:49], v[90:91], s[26:27], -v[118:119]
	s_delay_alu instid0(VALU_DEP_3) | instskip(SKIP_1) | instid1(VALU_DEP_3)
	v_add_f64_e32 v[22:23], v[36:37], v[22:23]
	v_fma_f64 v[36:37], v[136:137], s[48:49], v[126:127]
	v_add_f64_e32 v[46:47], v[48:49], v[46:47]
	v_fma_f64 v[48:49], v[136:137], s[0:1], v[126:127]
	s_delay_alu instid0(VALU_DEP_3) | instskip(SKIP_1) | instid1(VALU_DEP_3)
	v_add_f64_e32 v[20:21], v[36:37], v[20:21]
	v_fma_f64 v[36:37], v[116:117], s[6:7], v[130:131]
	v_add_f64_e32 v[44:45], v[48:49], v[44:45]
	v_fma_f64 v[48:49], v[116:117], s[6:7], -v[130:131]
	s_delay_alu instid0(VALU_DEP_3) | instskip(SKIP_1) | instid1(VALU_DEP_3)
	;; [unrolled: 10-line block ×4, first 2 shown]
	v_add_f64_e32 v[36:37], v[36:37], v[22:23]
	v_fma_f64 v[22:23], v[162:163], s[36:37], v[166:167]
	v_add_f64_e32 v[48:49], v[48:49], v[46:47]
	v_fma_f64 v[46:47], v[162:163], s[28:29], v[166:167]
	s_delay_alu instid0(VALU_DEP_3) | instskip(SKIP_1) | instid1(VALU_DEP_3)
	v_add_f64_e32 v[22:23], v[22:23], v[20:21]
	v_fma_f64 v[20:21], v[142:143], s[24:25], v[170:171]
	v_add_f64_e32 v[46:47], v[46:47], v[44:45]
	v_add_f64_e32 v[44:45], v[54:55], v[48:49]
	v_fma_f64 v[48:49], v[88:89], s[28:29], v[188:189]
	s_delay_alu instid0(VALU_DEP_4) | instskip(SKIP_1) | instid1(VALU_DEP_3)
	v_add_f64_e32 v[20:21], v[20:21], v[36:37]
	v_mul_f64_e32 v[36:37], s[24:25], v[138:139]
	v_add_f64_e32 v[48:49], v[48:49], v[66:67]
	s_delay_alu instid0(VALU_DEP_2) | instskip(NEXT) | instid1(VALU_DEP_1)
	v_add_f64_e32 v[36:37], v[217:218], v[36:37]
	v_add_f64_e32 v[24:25], v[36:37], v[24:25]
	v_mul_f64_e32 v[36:37], s[6:7], v[142:143]
	s_delay_alu instid0(VALU_DEP_2) | instskip(NEXT) | instid1(VALU_DEP_2)
	v_add_f64_e32 v[24:25], v[42:43], v[24:25]
	v_add_f64_e64 v[36:37], v[36:37], -v[199:200]
	v_mul_f64_e32 v[42:43], s[34:35], v[94:95]
	v_mul_f64_e32 v[198:199], s[16:17], v[154:155]
	s_delay_alu instid0(VALU_DEP_4) | instskip(NEXT) | instid1(VALU_DEP_4)
	v_add_f64_e32 v[26:27], v[38:39], v[24:25]
	v_add_f64_e32 v[24:25], v[36:37], v[40:41]
	v_mul_f64_e32 v[36:37], s[6:7], v[138:139]
	v_mul_f64_e32 v[40:41], s[24:25], v[112:113]
	v_add_f64_e32 v[42:43], v[219:220], v[42:43]
	v_mul_f64_e32 v[38:39], s[14:15], v[128:129]
	s_delay_alu instid0(VALU_DEP_4) | instskip(SKIP_2) | instid1(VALU_DEP_4)
	v_add_f64_e32 v[36:37], v[86:87], v[36:37]
	v_mul_f64_e32 v[86:87], s[26:27], v[84:85]
	v_add_f64_e32 v[40:41], v[235:236], v[40:41]
	v_add_f64_e32 v[38:39], v[251:252], v[38:39]
	s_delay_alu instid0(VALU_DEP_3) | instskip(NEXT) | instid1(VALU_DEP_1)
	v_add_f64_e32 v[86:87], v[209:210], v[86:87]
	v_add_f64_e32 v[28:29], v[86:87], v[28:29]
	v_mul_f64_e32 v[86:87], s[24:25], v[90:91]
	s_delay_alu instid0(VALU_DEP_2) | instskip(NEXT) | instid1(VALU_DEP_2)
	v_add_f64_e32 v[28:29], v[42:43], v[28:29]
	v_add_f64_e64 v[86:87], v[86:87], -v[205:206]
	v_mul_f64_e32 v[42:43], s[20:21], v[146:147]
	s_delay_alu instid0(VALU_DEP_3) | instskip(NEXT) | instid1(VALU_DEP_3)
	v_add_f64_e32 v[28:29], v[40:41], v[28:29]
	v_add_f64_e32 v[30:31], v[86:87], v[30:31]
	s_delay_alu instid0(VALU_DEP_3)
	v_add_f64_e32 v[42:43], v[241:242], v[42:43]
	v_mul_f64_e32 v[40:41], s[20:21], v[132:133]
	v_mul_f64_e32 v[86:87], s[34:35], v[84:85]
	v_add_f64_e32 v[28:29], v[38:39], v[28:29]
	v_add_f64_e32 v[30:31], v[176:177], v[30:31]
	v_mul_f64_e32 v[38:39], s[30:31], v[154:155]
	v_add_f64_e64 v[40:41], v[40:41], -v[233:234]
	v_add_f64_e32 v[86:87], v[225:226], v[86:87]
	v_mul_f64_e32 v[176:177], s[20:21], v[138:139]
	v_add_f64_e32 v[28:29], v[36:37], v[28:29]
	v_add_f64_e32 v[30:31], v[174:175], v[30:31]
	;; [unrolled: 1-line block ×3, first 2 shown]
	v_mul_f64_e32 v[36:37], s[30:31], v[142:143]
	v_add_f64_e32 v[32:33], v[86:87], v[32:33]
	v_mul_f64_e32 v[86:87], s[6:7], v[90:91]
	v_mul_f64_e32 v[174:175], s[44:45], v[150:151]
	;; [unrolled: 1-line block ×3, first 2 shown]
	v_add_f64_e32 v[28:29], v[42:43], v[28:29]
	v_add_f64_e32 v[40:41], v[40:41], v[30:31]
	v_mul_f64_e32 v[42:43], s[6:7], v[112:113]
	v_add_f64_e64 v[36:37], v[36:37], -v[227:228]
	v_add_f64_e64 v[86:87], v[86:87], -v[223:224]
	v_add_f64_e32 v[30:31], v[38:39], v[28:29]
	v_mul_f64_e32 v[38:39], s[30:31], v[138:139]
	v_add_f64_e32 v[42:43], v[249:250], v[42:43]
	v_add_f64_e32 v[28:29], v[36:37], v[40:41]
	v_mul_f64_e32 v[36:37], s[26:27], v[146:147]
	v_mul_f64_e32 v[40:41], s[16:17], v[128:129]
	v_add_f64_e32 v[38:39], v[92:93], v[38:39]
	v_mul_f64_e32 v[92:93], s[30:31], v[124:125]
	s_delay_alu instid0(VALU_DEP_4) | instskip(NEXT) | instid1(VALU_DEP_4)
	v_add_f64_e32 v[36:37], v[104:105], v[36:37]
	v_add_f64_e32 v[40:41], v[82:83], v[40:41]
	v_mul_f64_e32 v[82:83], s[24:25], v[94:95]
	v_mul_f64_e32 v[104:105], s[24:25], v[80:81]
	v_add_f64_e64 v[78:79], v[92:93], -v[78:79]
	v_mul_f64_e32 v[92:93], s[34:35], v[76:77]
	s_delay_alu instid0(VALU_DEP_4) | instskip(NEXT) | instid1(VALU_DEP_4)
	v_add_f64_e32 v[82:83], v[237:238], v[82:83]
	v_add_f64_e64 v[104:105], v[104:105], -v[221:222]
	s_delay_alu instid0(VALU_DEP_3) | instskip(NEXT) | instid1(VALU_DEP_3)
	v_add_f64_e64 v[92:93], v[92:93], -v[213:214]
	v_add_f64_e32 v[32:33], v[82:83], v[32:33]
	v_mul_f64_e32 v[82:83], s[16:17], v[116:117]
	s_delay_alu instid0(VALU_DEP_3)
	v_add_f64_e32 v[34:35], v[92:93], v[34:35]
	v_mul_f64_e32 v[92:93], s[18:19], v[122:123]
	v_mul_f64_e32 v[122:123], s[38:39], v[122:123]
	v_add_f64_e32 v[32:33], v[42:43], v[32:33]
	v_add_f64_e64 v[82:83], v[82:83], -v[229:230]
	v_mul_f64_e32 v[42:43], s[26:27], v[132:133]
	v_add_f64_e32 v[34:35], v[104:105], v[34:35]
	v_mul_f64_e32 v[104:105], s[34:35], v[128:129]
	v_add_f64_e32 v[32:33], v[40:41], v[32:33]
	v_mul_f64_e32 v[40:41], s[14:15], v[154:155]
	v_add_f64_e64 v[42:43], v[42:43], -v[245:246]
	v_add_f64_e32 v[34:35], v[86:87], v[34:35]
	v_mul_f64_e32 v[86:87], s[16:17], v[112:113]
	v_fma_f64 v[64:65], v[136:137], s[50:51], v[104:105]
	v_add_f64_e32 v[32:33], v[38:39], v[32:33]
	v_mul_f64_e32 v[38:39], s[14:15], v[142:143]
	v_add_f64_e32 v[40:41], v[253:254], v[40:41]
	v_add_f64_e32 v[34:35], v[82:83], v[34:35]
	v_mul_f64_e32 v[82:83], s[52:53], v[110:111]
	v_fma_f64 v[66:67], v[120:121], s[46:47], v[86:87]
	v_add_f64_e32 v[32:33], v[36:37], v[32:33]
	v_add_f64_e64 v[38:39], v[38:39], -v[243:244]
	v_add_f64_e32 v[34:35], v[78:79], v[34:35]
	v_mul_f64_e32 v[78:79], s[30:31], v[84:85]
	s_delay_alu instid0(VALU_DEP_2) | instskip(SKIP_1) | instid1(VALU_DEP_2)
	v_add_f64_e32 v[36:37], v[42:43], v[34:35]
	v_add_f64_e32 v[34:35], v[40:41], v[32:33]
	;; [unrolled: 1-line block ×3, first 2 shown]
	s_delay_alu instid0(VALU_DEP_4) | instskip(NEXT) | instid1(VALU_DEP_1)
	v_fma_f64 v[36:37], v[88:89], s[40:41], v[78:79]
	v_add_f64_e32 v[36:37], v[36:37], v[72:73]
	v_mul_f64_e32 v[72:73], s[40:41], v[106:107]
	s_delay_alu instid0(VALU_DEP_1) | instskip(NEXT) | instid1(VALU_DEP_1)
	v_fma_f64 v[38:39], v[76:77], s[30:31], -v[72:73]
	v_add_f64_e32 v[38:39], v[38:39], v[52:53]
	v_mul_f64_e32 v[52:53], s[14:15], v[94:95]
	s_delay_alu instid0(VALU_DEP_1) | instskip(SKIP_1) | instid1(VALU_DEP_2)
	v_fma_f64 v[40:41], v[108:109], s[52:53], v[52:53]
	v_fma_f64 v[52:53], v[108:109], s[10:11], v[52:53]
	v_add_f64_e32 v[36:37], v[40:41], v[36:37]
	v_fma_f64 v[40:41], v[80:81], s[14:15], -v[82:83]
	s_delay_alu instid0(VALU_DEP_1) | instskip(SKIP_1) | instid1(VALU_DEP_1)
	v_add_f64_e32 v[38:39], v[40:41], v[38:39]
	v_fma_f64 v[40:41], v[120:121], s[18:19], v[86:87]
	v_add_f64_e32 v[36:37], v[40:41], v[36:37]
	v_fma_f64 v[40:41], v[90:91], s[16:17], -v[92:93]
	s_delay_alu instid0(VALU_DEP_1) | instskip(SKIP_1) | instid1(VALU_DEP_1)
	v_add_f64_e32 v[38:39], v[40:41], v[38:39]
	;; [unrolled: 5-line block ×6, first 2 shown]
	v_fma_f64 v[40:41], v[88:89], s[36:37], v[188:189]
	v_add_f64_e32 v[40:41], v[40:41], v[68:69]
	v_mul_f64_e32 v[68:69], s[36:37], v[106:107]
	s_delay_alu instid0(VALU_DEP_1) | instskip(SKIP_2) | instid1(VALU_DEP_3)
	v_fma_f64 v[42:43], v[76:77], s[24:25], -v[68:69]
	v_fma_f64 v[54:55], v[76:77], s[24:25], v[68:69]
	v_fma_f64 v[68:69], v[162:163], s[54:55], v[184:185]
	v_add_f64_e32 v[42:43], v[42:43], v[50:51]
	v_mul_f64_e32 v[50:51], s[6:7], v[94:95]
	s_delay_alu instid0(VALU_DEP_4) | instskip(SKIP_1) | instid1(VALU_DEP_3)
	v_add_f64_e32 v[54:55], v[54:55], v[58:59]
	v_fma_f64 v[58:59], v[152:153], s[22:23], v[176:177]
	v_fma_f64 v[106:107], v[108:109], s[0:1], v[50:51]
	;; [unrolled: 1-line block ×3, first 2 shown]
	s_delay_alu instid0(VALU_DEP_2) | instskip(SKIP_1) | instid1(VALU_DEP_3)
	v_add_f64_e32 v[40:41], v[106:107], v[40:41]
	v_mul_f64_e32 v[106:107], s[0:1], v[110:111]
	v_add_f64_e32 v[48:49], v[50:51], v[48:49]
	s_delay_alu instid0(VALU_DEP_2) | instskip(SKIP_1) | instid1(VALU_DEP_2)
	v_fma_f64 v[110:111], v[80:81], s[6:7], -v[106:107]
	v_fma_f64 v[50:51], v[80:81], s[6:7], v[106:107]
	v_add_f64_e32 v[42:43], v[110:111], v[42:43]
	v_mul_f64_e32 v[110:111], s[30:31], v[112:113]
	s_delay_alu instid0(VALU_DEP_3) | instskip(NEXT) | instid1(VALU_DEP_2)
	v_add_f64_e32 v[50:51], v[50:51], v[54:55]
	v_fma_f64 v[190:191], v[120:121], s[38:39], v[110:111]
	v_fma_f64 v[54:55], v[120:121], s[40:41], v[110:111]
	s_delay_alu instid0(VALU_DEP_2) | instskip(SKIP_1) | instid1(VALU_DEP_3)
	v_add_f64_e32 v[40:41], v[190:191], v[40:41]
	v_fma_f64 v[190:191], v[90:91], s[30:31], -v[122:123]
	v_add_f64_e32 v[48:49], v[54:55], v[48:49]
	v_fma_f64 v[54:55], v[90:91], s[30:31], v[122:123]
	s_delay_alu instid0(VALU_DEP_3) | instskip(SKIP_1) | instid1(VALU_DEP_3)
	v_add_f64_e32 v[42:43], v[190:191], v[42:43]
	v_mul_f64_e32 v[190:191], s[20:21], v[128:129]
	v_add_f64_e32 v[50:51], v[54:55], v[50:51]
	s_delay_alu instid0(VALU_DEP_2) | instskip(SKIP_1) | instid1(VALU_DEP_2)
	v_fma_f64 v[192:193], v[136:137], s[56:57], v[190:191]
	v_fma_f64 v[54:55], v[136:137], s[22:23], v[190:191]
	v_add_f64_e32 v[40:41], v[192:193], v[40:41]
	v_fma_f64 v[192:193], v[116:117], s[20:21], -v[150:151]
	s_delay_alu instid0(VALU_DEP_3) | instskip(SKIP_1) | instid1(VALU_DEP_3)
	v_add_f64_e32 v[48:49], v[54:55], v[48:49]
	v_fma_f64 v[54:55], v[116:117], s[20:21], v[150:151]
	v_add_f64_e32 v[42:43], v[192:193], v[42:43]
	v_mul_f64_e32 v[192:193], s[14:15], v[138:139]
	s_delay_alu instid0(VALU_DEP_3) | instskip(NEXT) | instid1(VALU_DEP_2)
	v_add_f64_e32 v[50:51], v[54:55], v[50:51]
	v_fma_f64 v[194:195], v[152:153], s[10:11], v[192:193]
	v_fma_f64 v[54:55], v[152:153], s[52:53], v[192:193]
	s_delay_alu instid0(VALU_DEP_2) | instskip(SKIP_1) | instid1(VALU_DEP_3)
	v_add_f64_e32 v[40:41], v[194:195], v[40:41]
	v_fma_f64 v[194:195], v[124:125], s[14:15], -v[160:161]
	v_add_f64_e32 v[48:49], v[54:55], v[48:49]
	v_fma_f64 v[54:55], v[124:125], s[14:15], v[160:161]
	s_delay_alu instid0(VALU_DEP_3) | instskip(SKIP_1) | instid1(VALU_DEP_3)
	v_add_f64_e32 v[42:43], v[194:195], v[42:43]
	v_mul_f64_e32 v[194:195], s[34:35], v[146:147]
	v_add_f64_e32 v[50:51], v[54:55], v[50:51]
	s_delay_alu instid0(VALU_DEP_2) | instskip(SKIP_1) | instid1(VALU_DEP_2)
	v_fma_f64 v[54:55], v[158:159], s[50:51], v[194:195]
	v_fma_f64 v[196:197], v[158:159], s[44:45], v[194:195]
	v_add_f64_e32 v[48:49], v[54:55], v[48:49]
	v_fma_f64 v[54:55], v[132:133], s[34:35], v[168:169]
	s_delay_alu instid0(VALU_DEP_3) | instskip(SKIP_1) | instid1(VALU_DEP_3)
	v_add_f64_e32 v[40:41], v[196:197], v[40:41]
	v_fma_f64 v[196:197], v[132:133], s[34:35], -v[168:169]
	v_add_f64_e32 v[54:55], v[54:55], v[50:51]
	v_fma_f64 v[50:51], v[162:163], s[18:19], v[198:199]
	s_delay_alu instid0(VALU_DEP_3) | instskip(SKIP_1) | instid1(VALU_DEP_3)
	v_add_f64_e32 v[196:197], v[196:197], v[42:43]
	v_fma_f64 v[42:43], v[162:163], s[46:47], v[198:199]
	v_add_f64_e32 v[50:51], v[50:51], v[48:49]
	v_add_f64_e32 v[48:49], v[56:57], v[54:55]
	v_fma_f64 v[54:55], v[88:89], s[38:39], v[78:79]
	v_fma_f64 v[56:57], v[158:159], s[48:49], v[180:181]
	v_add_f64_e32 v[42:43], v[42:43], v[40:41]
	v_fma_f64 v[40:41], v[142:143], s[16:17], -v[172:173]
	s_delay_alu instid0(VALU_DEP_4)
	v_add_f64_e32 v[54:55], v[54:55], v[70:71]
	v_fma_f64 v[70:71], v[76:77], s[30:31], v[72:73]
	v_mul_f64_e32 v[72:73], s[14:15], v[76:77]
	v_mul_f64_e32 v[76:77], s[16:17], v[80:81]
	v_add_f64_e32 v[40:41], v[40:41], v[196:197]
	v_add_f64_e32 v[52:53], v[52:53], v[54:55]
	;; [unrolled: 1-line block ×3, first 2 shown]
	v_fma_f64 v[54:55], v[80:81], s[14:15], v[82:83]
	v_mul_f64_e32 v[70:71], s[24:25], v[116:117]
	s_delay_alu instid0(VALU_DEP_4) | instskip(SKIP_1) | instid1(VALU_DEP_4)
	v_add_f64_e32 v[52:53], v[66:67], v[52:53]
	v_mul_f64_e32 v[66:67], s[14:15], v[84:85]
	v_add_f64_e32 v[54:55], v[54:55], v[60:61]
	v_fma_f64 v[60:61], v[90:91], s[16:17], v[92:93]
	s_delay_alu instid0(VALU_DEP_4) | instskip(SKIP_1) | instid1(VALU_DEP_3)
	v_add_f64_e32 v[52:53], v[64:65], v[52:53]
	v_mul_f64_e32 v[64:65], s[16:17], v[94:95]
	v_add_f64_e32 v[54:55], v[60:61], v[54:55]
	v_fma_f64 v[60:61], v[116:117], s[34:35], v[174:175]
	s_delay_alu instid0(VALU_DEP_4) | instskip(SKIP_1) | instid1(VALU_DEP_3)
	v_add_f64_e32 v[52:53], v[58:59], v[52:53]
	v_fma_f64 v[58:59], v[124:125], s[20:21], v[178:179]
	v_add_f64_e32 v[54:55], v[60:61], v[54:55]
	v_mul_f64_e32 v[60:61], s[20:21], v[112:113]
	s_delay_alu instid0(VALU_DEP_4) | instskip(SKIP_1) | instid1(VALU_DEP_4)
	v_add_f64_e32 v[52:53], v[56:57], v[52:53]
	v_fma_f64 v[56:57], v[132:133], s[6:7], v[182:183]
	v_add_f64_e32 v[54:55], v[58:59], v[54:55]
	v_fma_f64 v[58:59], v[142:143], s[26:27], v[186:187]
	s_delay_alu instid0(VALU_DEP_2) | instskip(SKIP_2) | instid1(VALU_DEP_3)
	v_add_f64_e32 v[56:57], v[56:57], v[54:55]
	v_add_f64_e32 v[54:55], v[68:69], v[52:53]
	v_mul_f64_e32 v[68:69], s[26:27], v[124:125]
	v_add_f64_e32 v[52:53], v[58:59], v[56:57]
	v_mul_f64_e32 v[56:57], s[26:27], v[138:139]
	v_mul_f64_e32 v[58:59], s[24:25], v[128:129]
	s_wait_loadcnt 0x0
	s_delay_alu instid0(VALU_DEP_2)
	v_add_f64_e32 v[56:57], v[0:1], v[56:57]
	scratch_load_b64 v[0:1], off, off offset:172 th:TH_LOAD_LU ; 8-byte Folded Reload
	s_wait_loadcnt 0x0
	v_add_f64_e32 v[58:59], v[0:1], v[58:59]
	scratch_load_b64 v[0:1], off, off offset:124 th:TH_LOAD_LU ; 8-byte Folded Reload
	s_wait_loadcnt 0x0
	v_add_f64_e32 v[60:61], v[0:1], v[60:61]
	scratch_load_b64 v[0:1], off, off offset:108 th:TH_LOAD_LU ; 8-byte Folded Reload
	s_wait_loadcnt 0x0
	v_add_f64_e32 v[64:65], v[0:1], v[64:65]
	scratch_load_b64 v[0:1], off, off offset:76 th:TH_LOAD_LU ; 8-byte Folded Reload
	s_wait_loadcnt 0x0
	v_add_f64_e32 v[66:67], v[0:1], v[66:67]
	scratch_load_b64 v[0:1], off, off offset:156 th:TH_LOAD_LU ; 8-byte Folded Reload
	v_add_f64_e32 v[66:67], v[66:67], v[74:75]
	s_delay_alu instid0(VALU_DEP_1) | instskip(SKIP_1) | instid1(VALU_DEP_2)
	v_add_f64_e32 v[64:65], v[64:65], v[66:67]
	v_mul_f64_e32 v[66:67], s[30:31], v[146:147]
	v_add_f64_e32 v[60:61], v[60:61], v[64:65]
	v_mul_f64_e32 v[64:65], s[30:31], v[132:133]
	s_delay_alu instid0(VALU_DEP_3) | instskip(NEXT) | instid1(VALU_DEP_3)
	v_add_f64_e32 v[66:67], v[148:149], v[66:67]
	v_add_f64_e32 v[58:59], v[58:59], v[60:61]
	s_delay_alu instid0(VALU_DEP_1) | instskip(NEXT) | instid1(VALU_DEP_1)
	v_add_f64_e32 v[56:57], v[56:57], v[58:59]
	v_add_f64_e32 v[56:57], v[66:67], v[56:57]
	s_wait_loadcnt 0x0
	v_add_f64_e64 v[68:69], v[68:69], -v[0:1]
	scratch_load_b64 v[0:1], off, off offset:140 th:TH_LOAD_LU ; 8-byte Folded Reload
	s_wait_loadcnt 0x0
	v_add_f64_e64 v[70:71], v[70:71], -v[0:1]
	scratch_load_b64 v[0:1], off, off offset:44 th:TH_LOAD_LU ; 8-byte Folded Reload
	;; [unrolled: 3-line block ×3, first 2 shown]
	v_add_f64_e32 v[62:63], v[72:73], v[62:63]
	v_mul_f64_e32 v[72:73], s[20:21], v[90:91]
	s_wait_loadcnt 0x0
	v_add_f64_e64 v[76:77], v[76:77], -v[0:1]
	scratch_load_b64 v[0:1], off, off offset:92 th:TH_LOAD_LU ; 8-byte Folded Reload
	v_add_f64_e32 v[62:63], v[76:77], v[62:63]
	s_wait_loadcnt 0x0
	v_add_f64_e64 v[72:73], v[72:73], -v[0:1]
	scratch_load_b64 v[0:1], off, off offset:188 th:TH_LOAD_LU ; 8-byte Folded Reload
	v_add_f64_e32 v[62:63], v[72:73], v[62:63]
	s_delay_alu instid0(VALU_DEP_1) | instskip(SKIP_1) | instid1(VALU_DEP_2)
	v_add_f64_e32 v[60:61], v[70:71], v[62:63]
	v_mul_f64_e32 v[62:63], s[34:35], v[154:155]
	v_add_f64_e32 v[58:59], v[68:69], v[60:61]
	v_mul_f64_e32 v[60:61], s[34:35], v[142:143]
	s_delay_alu instid0(VALU_DEP_3)
	v_add_f64_e32 v[62:63], v[156:157], v[62:63]
	s_wait_loadcnt 0x0
	v_add_f64_e64 v[64:65], v[64:65], -v[0:1]
	scratch_load_b64 v[0:1], off, off offset:220 th:TH_LOAD_LU ; 8-byte Folded Reload
	v_add_f64_e32 v[64:65], v[64:65], v[58:59]
	v_add_f64_e32 v[58:59], v[62:63], v[56:57]
	s_wait_loadcnt 0x0
	v_add_f64_e64 v[60:61], v[60:61], -v[0:1]
	scratch_load_b32 v0, off, off           ; 4-byte Folded Reload
	v_add_f64_e32 v[56:57], v[60:61], v[64:65]
	s_wait_loadcnt 0x0
	v_mul_lo_u16 v0, v0, 17
	s_delay_alu instid0(VALU_DEP_1) | instskip(NEXT) | instid1(VALU_DEP_1)
	v_and_b32_e32 v0, 0xffff, v0
	v_lshlrev_b32_e32 v0, 4, v0
	ds_store_b128 v0, v[24:27] offset:32
	ds_store_b128 v0, v[28:31] offset:48
	;; [unrolled: 1-line block ×8, first 2 shown]
	scratch_load_b128 v[1:4], off, off offset:28 ; 16-byte Folded Reload
	s_wait_loadcnt 0x0
	ds_store_b128 v0, v[1:4] offset:240
	ds_store_b128 v0, v[8:11] offset:144
	;; [unrolled: 1-line block ×7, first 2 shown]
	ds_store_b128 v0, v[12:15]
	scratch_load_b128 v[1:4], off, off offset:12 ; 16-byte Folded Reload
	s_wait_loadcnt 0x0
	ds_store_b128 v0, v[1:4] offset:256
.LBB0_7:
	s_or_b32 exec_lo, exec_lo, s33
	scratch_load_b32 v254, off, off         ; 4-byte Folded Reload
	s_load_b128 s[4:7], s[4:5], 0x0
	s_mov_b32 s28, 0x42a4c3d2
	s_mov_b32 s26, 0x66966769
	s_mov_b32 s24, 0x2ef20147
	s_mov_b32 s22, 0x24c2f84
	s_mov_b32 s20, 0x4bc48dbf
	s_mov_b32 s35, 0xbfddbe06
	s_mov_b32 s34, 0x4267c47c
	s_mov_b32 s29, 0xbfea55e2
	s_mov_b32 s27, 0xbfefc445
	s_mov_b32 s25, 0xbfedeba7
	s_mov_b32 s23, 0xbfe5384d
	s_mov_b32 s21, 0xbfcea1e5
	s_mov_b32 s30, 0xe00740e9
	s_mov_b32 s16, 0x1ea71119
	s_mov_b32 s18, 0xebaa3ed8
	s_mov_b32 s14, 0xb2365da1
	s_mov_b32 s10, 0xd0032e0c
	s_mov_b32 s0, 0x93053d00
	s_mov_b32 s31, 0x3fec55a7
	s_mov_b32 s17, 0x3fe22d96
	s_mov_b32 s19, 0x3fbedb7d
	s_mov_b32 s15, 0xbfd6b1d8
	s_mov_b32 s11, 0xbfe7f3cc
	s_mov_b32 s1, 0xbfef11f4
	s_mov_b32 s37, 0x3fe5384d
	s_wait_alu 0xfffe
	s_mov_b32 s36, s22
	s_mov_b32 s39, 0x3fefc445
	;; [unrolled: 1-line block ×5, first 2 shown]
	s_wait_loadcnt 0x0
	v_and_b32_e32 v0, 0xff, v254
	s_delay_alu instid0(VALU_DEP_1) | instskip(NEXT) | instid1(VALU_DEP_1)
	v_mul_lo_u16 v0, 0xf1, v0
	v_lshrrev_b16 v0, 12, v0
	scratch_store_b32 off, v0, off offset:44 ; 4-byte Folded Spill
	v_mul_lo_u16 v0, v0, 17
	s_delay_alu instid0(VALU_DEP_1) | instskip(NEXT) | instid1(VALU_DEP_1)
	v_sub_nc_u16 v0, v254, v0
	v_and_b32_e32 v0, 0xff, v0
	scratch_store_b32 off, v0, off offset:60 ; 4-byte Folded Spill
	v_mul_u32_u24_e32 v0, 12, v0
	global_wb scope:SCOPE_SE
	s_wait_storecnt_dscnt 0x0
	s_wait_kmcnt 0x0
	s_barrier_signal -1
	s_barrier_wait -1
	global_inv scope:SCOPE_SE
	v_lshlrev_b32_e32 v60, 4, v0
	s_clause 0x3
	global_load_b128 v[0:3], v60, s[2:3]
	global_load_b128 v[4:7], v60, s[2:3] offset:176
	global_load_b128 v[12:15], v60, s[2:3] offset:16
	;; [unrolled: 1-line block ×3, first 2 shown]
	ds_load_b128 v[28:31], v255 offset:816
	ds_load_b128 v[24:27], v255 offset:9792
	ds_load_b128 v[128:131], v255
	s_wait_loadcnt_dscnt 0x302
	v_mul_f64_e32 v[32:33], v[30:31], v[2:3]
	v_mul_f64_e32 v[34:35], v[28:29], v[2:3]
	s_wait_loadcnt_dscnt 0x201
	v_mul_f64_e32 v[36:37], v[24:25], v[6:7]
	v_mul_f64_e32 v[38:39], v[26:27], v[6:7]
	s_clause 0x1
	scratch_store_b128 off, v[0:3], off offset:76
	scratch_store_b128 off, v[4:7], off offset:92
	s_wait_loadcnt 0x1
	scratch_store_b128 off, v[12:15], off offset:124 ; 16-byte Folded Spill
	v_fma_f64 v[114:115], v[28:29], v[0:1], -v[32:33]
	v_fma_f64 v[116:117], v[30:31], v[0:1], v[34:35]
	ds_load_b128 v[28:31], v255 offset:1632
	v_fma_f64 v[26:27], v[26:27], v[4:5], v[36:37]
	v_fma_f64 v[24:25], v[24:25], v[4:5], -v[38:39]
	ds_load_b128 v[36:39], v255 offset:2448
	s_wait_dscnt 0x1
	v_mul_f64_e32 v[32:33], v[30:31], v[14:15]
	v_add_f64_e32 v[152:153], v[116:117], v[26:27]
	v_add_f64_e32 v[124:125], v[114:115], v[24:25]
	s_delay_alu instid0(VALU_DEP_3) | instskip(SKIP_1) | instid1(VALU_DEP_1)
	v_fma_f64 v[64:65], v[28:29], v[12:13], -v[32:33]
	v_mul_f64_e32 v[28:29], v[28:29], v[14:15]
	v_fma_f64 v[66:67], v[30:31], v[12:13], v[28:29]
	ds_load_b128 v[30:33], v255 offset:8976
	ds_load_b128 v[40:43], v255 offset:8160
	s_wait_loadcnt 0x0
	scratch_store_b128 off, v[8:11], off offset:108 ; 16-byte Folded Spill
	s_clause 0x1
	global_load_b128 v[4:7], v60, s[2:3] offset:32
	global_load_b128 v[0:3], v60, s[2:3] offset:48
	s_wait_dscnt 0x1
	v_mul_f64_e32 v[28:29], v[30:31], v[10:11]
	s_delay_alu instid0(VALU_DEP_1) | instskip(SKIP_1) | instid1(VALU_DEP_1)
	v_fma_f64 v[28:29], v[32:33], v[8:9], v[28:29]
	v_mul_f64_e32 v[32:33], v[32:33], v[10:11]
	v_fma_f64 v[30:31], v[30:31], v[8:9], -v[32:33]
	s_wait_loadcnt 0x1
	v_mul_f64_e32 v[48:49], v[38:39], v[6:7]
	scratch_store_b128 off, v[4:7], off offset:188 ; 16-byte Folded Spill
	v_fma_f64 v[72:73], v[36:37], v[4:5], -v[48:49]
	v_mul_f64_e32 v[36:37], v[36:37], v[6:7]
	s_delay_alu instid0(VALU_DEP_1)
	v_fma_f64 v[74:75], v[38:39], v[4:5], v[36:37]
	s_clause 0x1
	global_load_b128 v[8:11], v60, s[2:3] offset:144
	global_load_b128 v[4:7], v60, s[2:3] offset:128
	s_wait_loadcnt_dscnt 0x100
	v_mul_f64_e32 v[48:49], v[40:41], v[10:11]
	scratch_store_b128 off, v[8:11], off offset:220 ; 16-byte Folded Spill
	v_fma_f64 v[68:69], v[42:43], v[8:9], v[48:49]
	v_mul_f64_e32 v[42:43], v[42:43], v[10:11]
	s_delay_alu instid0(VALU_DEP_1)
	v_fma_f64 v[70:71], v[40:41], v[8:9], -v[42:43]
	ds_load_b128 v[40:43], v255 offset:3264
	ds_load_b128 v[48:51], v255 offset:4080
	scratch_store_b128 off, v[0:3], off offset:140 ; 16-byte Folded Spill
	s_wait_dscnt 0x1
	v_mul_f64_e32 v[56:57], v[40:41], v[2:3]
	v_add_f64_e64 v[190:191], v[72:73], -v[70:71]
	s_delay_alu instid0(VALU_DEP_2) | instskip(SKIP_1) | instid1(VALU_DEP_3)
	v_fma_f64 v[80:81], v[42:43], v[0:1], v[56:57]
	v_mul_f64_e32 v[42:43], v[42:43], v[2:3]
	v_mul_f64_e32 v[192:193], s[20:21], v[190:191]
	s_wait_alu 0xfffe
	v_mul_f64_e32 v[234:235], s[40:41], v[190:191]
	s_delay_alu instid0(VALU_DEP_3)
	v_fma_f64 v[82:83], v[40:41], v[0:1], -v[42:43]
	ds_load_b128 v[40:43], v255 offset:7344
	ds_load_b128 v[106:109], v255 offset:6528
	s_wait_loadcnt 0x0
	scratch_store_b128 off, v[4:7], off offset:156 ; 16-byte Folded Spill
	s_wait_dscnt 0x1
	v_mul_f64_e32 v[56:57], v[40:41], v[6:7]
	s_delay_alu instid0(VALU_DEP_1) | instskip(SKIP_1) | instid1(VALU_DEP_2)
	v_fma_f64 v[76:77], v[42:43], v[4:5], v[56:57]
	v_mul_f64_e32 v[42:43], v[42:43], v[6:7]
	v_add_f64_e64 v[194:195], v[80:81], -v[76:77]
	s_delay_alu instid0(VALU_DEP_2)
	v_fma_f64 v[78:79], v[40:41], v[4:5], -v[42:43]
	s_clause 0x1
	global_load_b128 v[4:7], v60, s[2:3] offset:64
	global_load_b128 v[0:3], v60, s[2:3] offset:80
	v_add_f64_e32 v[200:201], v[80:81], v[76:77]
	v_mul_f64_e32 v[196:197], s[36:37], v[194:195]
	v_add_f64_e64 v[198:199], v[82:83], -v[78:79]
	s_delay_alu instid0(VALU_DEP_1)
	v_mul_f64_e32 v[202:203], s[36:37], v[198:199]
	s_wait_loadcnt 0x1
	v_mul_f64_e32 v[61:62], v[50:51], v[6:7]
	scratch_store_b128 off, v[4:7], off offset:236 ; 16-byte Folded Spill
	v_fma_f64 v[84:85], v[48:49], v[4:5], -v[61:62]
	v_mul_f64_e32 v[48:49], v[48:49], v[6:7]
	s_delay_alu instid0(VALU_DEP_1)
	v_fma_f64 v[86:87], v[50:51], v[4:5], v[48:49]
	ds_load_b128 v[48:51], v255 offset:4896
	ds_load_b128 v[110:113], v255 offset:5712
	s_wait_loadcnt 0x0
	scratch_store_b128 off, v[0:3], off offset:172 ; 16-byte Folded Spill
	s_wait_dscnt 0x1
	v_mul_f64_e32 v[61:62], v[50:51], v[2:3]
	s_delay_alu instid0(VALU_DEP_1) | instskip(SKIP_1) | instid1(VALU_DEP_1)
	v_fma_f64 v[88:89], v[48:49], v[0:1], -v[61:62]
	v_mul_f64_e32 v[48:49], v[48:49], v[2:3]
	v_fma_f64 v[90:91], v[50:51], v[0:1], v[48:49]
	s_clause 0x1
	global_load_b128 v[0:3], v60, s[2:3] offset:96
	global_load_b128 v[60:63], v60, s[2:3] offset:112
	s_wait_loadcnt_dscnt 0x100
	v_mul_f64_e32 v[92:93], v[112:113], v[2:3]
	s_wait_loadcnt 0x0
	v_mul_f64_e32 v[104:105], v[108:109], v[62:63]
	v_mul_f64_e32 v[94:95], v[110:111], v[2:3]
	scratch_store_b128 off, v[0:3], off offset:204 ; 16-byte Folded Spill
	v_fma_f64 v[92:93], v[110:111], v[0:1], -v[92:93]
	v_fma_f64 v[104:105], v[106:107], v[60:61], -v[104:105]
	v_mul_f64_e32 v[106:107], v[106:107], v[62:63]
	v_fma_f64 v[94:95], v[112:113], v[0:1], v[94:95]
	v_mul_f64_e32 v[0:1], s[26:27], v[198:199]
	v_add_f64_e32 v[218:219], v[88:89], v[92:93]
	v_add_f64_e32 v[206:207], v[84:85], v[104:105]
	v_fma_f64 v[106:107], v[108:109], v[60:61], v[106:107]
	v_add_f64_e64 v[108:109], v[116:117], -v[26:27]
	v_add_f64_e64 v[210:211], v[84:85], -v[104:105]
	;; [unrolled: 1-line block ×4, first 2 shown]
	v_add_f64_e32 v[224:225], v[90:91], v[94:95]
	v_fma_f64 v[2:3], v[200:201], s[18:19], v[0:1]
	v_fma_f64 v[0:1], v[200:201], s[18:19], -v[0:1]
	v_add_f64_e64 v[204:205], v[86:87], -v[106:107]
	v_mul_f64_e32 v[110:111], s[34:35], v[108:109]
	v_mul_f64_e32 v[112:113], s[28:29], v[108:109]
	;; [unrolled: 1-line block ×6, first 2 shown]
	v_add_f64_e32 v[212:213], v[86:87], v[106:107]
	v_mul_f64_e32 v[214:215], s[38:39], v[210:211]
	v_mul_f64_e32 v[242:243], s[28:29], v[210:211]
	;; [unrolled: 1-line block ×7, first 2 shown]
	v_fma_f64 v[126:127], v[124:125], s[30:31], -v[110:111]
	v_fma_f64 v[132:133], v[124:125], s[30:31], v[110:111]
	v_fma_f64 v[134:135], v[124:125], s[16:17], -v[112:113]
	v_fma_f64 v[136:137], v[124:125], s[16:17], v[112:113]
	;; [unrolled: 2-line block ×6, first 2 shown]
	v_add_f64_e64 v[108:109], v[114:115], -v[24:25]
	v_mul_f64_e32 v[240:241], s[28:29], v[204:205]
	v_fma_f64 v[38:39], v[218:219], s[14:15], -v[36:37]
	v_mul_f64_e32 v[52:53], s[24:25], v[204:205]
	v_fma_f64 v[58:59], v[218:219], s[18:19], -v[56:57]
	v_add_f64_e32 v[178:179], v[128:129], v[134:135]
	v_add_f64_e32 v[182:183], v[128:129], v[138:139]
	;; [unrolled: 1-line block ×3, first 2 shown]
	v_add_f64_e64 v[142:143], v[64:65], -v[30:31]
	v_add_f64_e32 v[148:149], v[128:129], v[148:149]
	v_mul_f64_e32 v[110:111], s[34:35], v[108:109]
	v_mul_f64_e32 v[112:113], s[28:29], v[108:109]
	;; [unrolled: 1-line block ×6, first 2 shown]
	s_mov_b32 s35, 0x3fddbe06
	v_fma_f64 v[54:55], v[206:207], s[14:15], -v[52:53]
	s_wait_alu 0xfffe
	v_mul_f64_e32 v[220:221], s[34:35], v[216:217]
	v_mul_f64_e32 v[226:227], s[34:35], v[222:223]
	;; [unrolled: 1-line block ×8, first 2 shown]
	v_fma_f64 v[156:157], v[152:153], s[30:31], -v[110:111]
	v_fma_f64 v[154:155], v[152:153], s[30:31], v[110:111]
	v_fma_f64 v[158:159], v[152:153], s[16:17], v[112:113]
	v_fma_f64 v[160:161], v[152:153], s[16:17], -v[112:113]
	v_fma_f64 v[162:163], v[152:153], s[18:19], v[118:119]
	v_fma_f64 v[164:165], v[152:153], s[18:19], -v[118:119]
	;; [unrolled: 2-line block ×5, first 2 shown]
	v_add_f64_e32 v[108:109], v[128:129], v[114:115]
	v_add_f64_e32 v[110:111], v[130:131], v[116:117]
	;; [unrolled: 1-line block ×8, first 2 shown]
	v_add_f64_e64 v[144:145], v[74:75], -v[68:69]
	v_fma_f64 v[34:35], v[206:207], s[30:31], -v[32:33]
	v_add_f64_e32 v[114:115], v[130:131], v[156:157]
	v_add_f64_e32 v[156:157], v[128:129], v[124:125]
	v_add_f64_e64 v[124:125], v[66:67], -v[28:29]
	v_add_f64_e32 v[122:123], v[130:131], v[160:161]
	v_add_f64_e32 v[160:161], v[128:129], v[150:151]
	;; [unrolled: 1-line block ×3, first 2 shown]
	v_mul_f64_e32 v[150:151], s[24:25], v[142:143]
	v_add_f64_e32 v[138:139], v[130:131], v[168:169]
	v_add_f64_e32 v[168:169], v[128:129], v[146:147]
	v_add_f64_e32 v[118:119], v[130:131], v[154:155]
	v_add_f64_e32 v[180:181], v[130:131], v[158:159]
	v_add_f64_e32 v[134:135], v[130:131], v[164:165]
	v_add_f64_e32 v[188:189], v[130:131], v[166:167]
	v_add_f64_e32 v[166:167], v[130:131], v[172:173]
	v_add_f64_e32 v[146:147], v[130:131], v[174:175]
	v_add_f64_e32 v[158:159], v[130:131], v[176:177]
	v_add_f64_e32 v[154:155], v[130:131], v[152:153]
	v_mul_f64_e32 v[152:153], s[20:21], v[144:145]
	v_mul_f64_e32 v[232:233], s[40:41], v[144:145]
	s_mov_b32 s41, 0x3fea55e2
	s_mov_b32 s40, s28
	v_mul_f64_e32 v[16:17], s[28:29], v[144:145]
	s_wait_alu 0xfffe
	v_mul_f64_e32 v[8:9], s[40:41], v[216:217]
	v_mul_f64_e32 v[44:45], s[22:23], v[144:145]
	;; [unrolled: 1-line block ×6, first 2 shown]
	v_fma_f64 v[10:11], v[218:219], s[16:17], -v[8:9]
	s_delay_alu instid0(VALU_DEP_4) | instskip(NEXT) | instid1(VALU_DEP_1)
	v_fma_f64 v[128:129], v[116:117], s[14:15], -v[132:133]
	v_add_f64_e32 v[162:163], v[128:129], v[178:179]
	v_add_f64_e32 v[128:129], v[66:67], v[28:29]
	s_delay_alu instid0(VALU_DEP_1)
	v_fma_f64 v[130:131], v[128:129], s[14:15], v[150:151]
	v_fma_f64 v[178:179], v[128:129], s[0:1], v[230:231]
	;; [unrolled: 1-line block ×4, first 2 shown]
	v_fma_f64 v[40:41], v[128:129], s[30:31], -v[40:41]
	v_fma_f64 v[12:13], v[128:129], s[18:19], -v[12:13]
	v_add_f64_e32 v[164:165], v[130:131], v[180:181]
	v_add_f64_e32 v[130:131], v[72:73], v[70:71]
	;; [unrolled: 1-line block ×7, first 2 shown]
	v_fma_f64 v[172:173], v[130:131], s[0:1], -v[152:153]
	v_fma_f64 v[180:181], v[130:131], s[14:15], -v[232:233]
	v_fma_f64 v[18:19], v[130:131], s[16:17], -v[16:17]
	v_fma_f64 v[46:47], v[130:131], s[10:11], -v[44:45]
	s_delay_alu instid0(VALU_DEP_4) | instskip(SKIP_1) | instid1(VALU_DEP_1)
	v_add_f64_e32 v[172:173], v[172:173], v[162:163]
	v_add_f64_e32 v[162:163], v[74:75], v[68:69]
	v_fma_f64 v[174:175], v[162:163], s[0:1], v[192:193]
	s_delay_alu instid0(VALU_DEP_1) | instskip(SKIP_1) | instid1(VALU_DEP_1)
	v_add_f64_e32 v[174:175], v[174:175], v[164:165]
	v_add_f64_e32 v[164:165], v[82:83], v[78:79]
	v_fma_f64 v[176:177], v[164:165], s[10:11], -v[196:197]
	v_fma_f64 v[50:51], v[164:165], s[16:17], -v[48:49]
	s_delay_alu instid0(VALU_DEP_2) | instskip(SKIP_1) | instid1(VALU_DEP_1)
	v_add_f64_e32 v[172:173], v[176:177], v[172:173]
	v_fma_f64 v[176:177], v[200:201], s[10:11], v[202:203]
	v_add_f64_e32 v[174:175], v[176:177], v[174:175]
	v_fma_f64 v[176:177], v[206:207], s[18:19], -v[208:209]
	s_delay_alu instid0(VALU_DEP_1) | instskip(SKIP_1) | instid1(VALU_DEP_1)
	v_add_f64_e32 v[172:173], v[176:177], v[172:173]
	v_fma_f64 v[176:177], v[212:213], s[18:19], v[214:215]
	v_add_f64_e32 v[174:175], v[176:177], v[174:175]
	v_fma_f64 v[176:177], v[218:219], s[30:31], -v[220:221]
	s_delay_alu instid0(VALU_DEP_1) | instskip(SKIP_1) | instid1(VALU_DEP_1)
	v_add_f64_e32 v[172:173], v[176:177], v[172:173]
	v_fma_f64 v[176:177], v[224:225], s[30:31], v[226:227]
	v_add_f64_e32 v[174:175], v[176:177], v[174:175]
	v_fma_f64 v[176:177], v[116:117], s[0:1], -v[228:229]
	s_delay_alu instid0(VALU_DEP_1) | instskip(NEXT) | instid1(VALU_DEP_1)
	v_add_f64_e32 v[176:177], v[176:177], v[182:183]
	v_add_f64_e32 v[176:177], v[180:181], v[176:177]
	v_fma_f64 v[180:181], v[162:163], s[14:15], v[234:235]
	s_delay_alu instid0(VALU_DEP_1) | instskip(SKIP_1) | instid1(VALU_DEP_1)
	v_add_f64_e32 v[178:179], v[180:181], v[178:179]
	v_fma_f64 v[180:181], v[164:165], s[30:31], -v[236:237]
	v_add_f64_e32 v[176:177], v[180:181], v[176:177]
	v_fma_f64 v[180:181], v[200:201], s[30:31], v[238:239]
	s_delay_alu instid0(VALU_DEP_1) | instskip(SKIP_1) | instid1(VALU_DEP_1)
	v_add_f64_e32 v[178:179], v[180:181], v[178:179]
	v_fma_f64 v[180:181], v[206:207], s[16:17], -v[240:241]
	;; [unrolled: 5-line block ×4, first 2 shown]
	v_add_f64_e32 v[181:182], v[181:182], v[186:187]
	v_mul_f64_e32 v[185:186], s[36:37], v[142:143]
	s_mov_b32 s37, 0x3fcea1e5
	s_mov_b32 s36, s20
	s_wait_alu 0xfffe
	v_mul_f64_e32 v[4:5], s[36:37], v[204:205]
	v_mul_f64_e32 v[20:21], s[36:37], v[194:195]
	s_delay_alu instid0(VALU_DEP_3) | instskip(NEXT) | instid1(VALU_DEP_3)
	v_fma_f64 v[183:184], v[128:129], s[10:11], v[185:186]
	v_fma_f64 v[6:7], v[206:207], s[0:1], -v[4:5]
	s_delay_alu instid0(VALU_DEP_3) | instskip(SKIP_1) | instid1(VALU_DEP_4)
	v_fma_f64 v[22:23], v[164:165], s[0:1], -v[20:21]
	v_fma_f64 v[4:5], v[206:207], s[0:1], v[4:5]
	v_add_f64_e32 v[183:184], v[183:184], v[188:189]
	v_mul_f64_e32 v[187:188], s[34:35], v[144:145]
	s_delay_alu instid0(VALU_DEP_1) | instskip(NEXT) | instid1(VALU_DEP_1)
	v_fma_f64 v[250:251], v[130:131], s[30:31], -v[187:188]
	v_add_f64_e32 v[181:182], v[250:251], v[181:182]
	v_mul_f64_e32 v[250:251], s[34:35], v[190:191]
	s_delay_alu instid0(VALU_DEP_1) | instskip(NEXT) | instid1(VALU_DEP_1)
	v_fma_f64 v[252:253], v[162:163], s[30:31], v[250:251]
	v_add_f64_e32 v[183:184], v[252:253], v[183:184]
	v_mul_f64_e32 v[252:253], s[26:27], v[194:195]
	s_delay_alu instid0(VALU_DEP_2) | instskip(NEXT) | instid1(VALU_DEP_2)
	v_add_f64_e32 v[2:3], v[2:3], v[183:184]
	v_fma_f64 v[170:171], v[164:165], s[18:19], -v[252:253]
	s_delay_alu instid0(VALU_DEP_1) | instskip(NEXT) | instid1(VALU_DEP_1)
	v_add_f64_e32 v[170:171], v[170:171], v[181:182]
	v_add_f64_e32 v[6:7], v[6:7], v[170:171]
	v_mul_f64_e32 v[170:171], s[36:37], v[210:211]
	s_delay_alu instid0(VALU_DEP_1) | instskip(NEXT) | instid1(VALU_DEP_1)
	v_fma_f64 v[181:182], v[212:213], s[0:1], v[170:171]
	v_add_f64_e32 v[2:3], v[181:182], v[2:3]
	s_delay_alu instid0(VALU_DEP_4) | instskip(SKIP_1) | instid1(VALU_DEP_1)
	v_add_f64_e32 v[181:182], v[10:11], v[6:7]
	v_mul_f64_e32 v[6:7], s[40:41], v[222:223]
	v_fma_f64 v[10:11], v[224:225], s[16:17], v[6:7]
	v_fma_f64 v[6:7], v[224:225], s[16:17], -v[6:7]
	s_delay_alu instid0(VALU_DEP_2) | instskip(SKIP_1) | instid1(VALU_DEP_1)
	v_add_f64_e32 v[183:184], v[10:11], v[2:3]
	v_mul_f64_e32 v[2:3], s[38:39], v[124:125]
	v_fma_f64 v[10:11], v[116:117], s[18:19], -v[2:3]
	v_fma_f64 v[2:3], v[116:117], s[18:19], v[2:3]
	s_delay_alu instid0(VALU_DEP_2) | instskip(NEXT) | instid1(VALU_DEP_2)
	v_add_f64_e32 v[10:11], v[10:11], v[168:169]
	v_add_f64_e32 v[2:3], v[2:3], v[148:149]
	s_delay_alu instid0(VALU_DEP_2) | instskip(SKIP_1) | instid1(VALU_DEP_2)
	v_add_f64_e32 v[10:11], v[18:19], v[10:11]
	v_mul_f64_e32 v[18:19], s[28:29], v[190:191]
	v_add_f64_e32 v[10:11], v[22:23], v[10:11]
	s_delay_alu instid0(VALU_DEP_2) | instskip(SKIP_1) | instid1(VALU_DEP_3)
	v_fma_f64 v[166:167], v[162:163], s[16:17], v[18:19]
	v_mul_f64_e32 v[22:23], s[36:37], v[198:199]
	v_add_f64_e32 v[10:11], v[34:35], v[10:11]
	s_delay_alu instid0(VALU_DEP_3) | instskip(NEXT) | instid1(VALU_DEP_3)
	v_add_f64_e32 v[14:15], v[166:167], v[14:15]
	v_fma_f64 v[166:167], v[200:201], s[0:1], v[22:23]
	v_mul_f64_e32 v[34:35], s[34:35], v[210:211]
	s_delay_alu instid0(VALU_DEP_2) | instskip(NEXT) | instid1(VALU_DEP_2)
	v_add_f64_e32 v[14:15], v[166:167], v[14:15]
	v_fma_f64 v[166:167], v[212:213], s[30:31], v[34:35]
	s_delay_alu instid0(VALU_DEP_1) | instskip(SKIP_2) | instid1(VALU_DEP_1)
	v_add_f64_e32 v[14:15], v[166:167], v[14:15]
	v_add_f64_e32 v[166:167], v[38:39], v[10:11]
	v_mul_f64_e32 v[10:11], s[24:25], v[222:223]
	v_fma_f64 v[38:39], v[224:225], s[14:15], v[10:11]
	v_fma_f64 v[10:11], v[224:225], s[14:15], -v[10:11]
	s_delay_alu instid0(VALU_DEP_2) | instskip(SKIP_1) | instid1(VALU_DEP_1)
	v_add_f64_e32 v[168:169], v[38:39], v[14:15]
	v_mul_f64_e32 v[14:15], s[34:35], v[124:125]
	v_fma_f64 v[38:39], v[116:117], s[30:31], -v[14:15]
	v_fma_f64 v[14:15], v[116:117], s[30:31], v[14:15]
	s_delay_alu instid0(VALU_DEP_2) | instskip(NEXT) | instid1(VALU_DEP_2)
	v_add_f64_e32 v[38:39], v[38:39], v[160:161]
	v_add_f64_e32 v[14:15], v[14:15], v[156:157]
	s_delay_alu instid0(VALU_DEP_2) | instskip(SKIP_1) | instid1(VALU_DEP_2)
	v_add_f64_e32 v[38:39], v[46:47], v[38:39]
	v_mul_f64_e32 v[46:47], s[22:23], v[190:191]
	v_add_f64_e32 v[38:39], v[50:51], v[38:39]
	s_delay_alu instid0(VALU_DEP_2) | instskip(SKIP_1) | instid1(VALU_DEP_3)
	v_fma_f64 v[158:159], v[162:163], s[10:11], v[46:47]
	v_mul_f64_e32 v[50:51], s[40:41], v[198:199]
	v_add_f64_e32 v[38:39], v[54:55], v[38:39]
	s_delay_alu instid0(VALU_DEP_3) | instskip(NEXT) | instid1(VALU_DEP_3)
	v_add_f64_e32 v[42:43], v[158:159], v[42:43]
	v_fma_f64 v[158:159], v[200:201], s[16:17], v[50:51]
	v_mul_f64_e32 v[54:55], s[24:25], v[210:211]
	s_delay_alu instid0(VALU_DEP_2) | instskip(NEXT) | instid1(VALU_DEP_2)
	v_add_f64_e32 v[42:43], v[158:159], v[42:43]
	v_fma_f64 v[158:159], v[212:213], s[14:15], v[54:55]
	s_delay_alu instid0(VALU_DEP_1) | instskip(SKIP_2) | instid1(VALU_DEP_1)
	v_add_f64_e32 v[42:43], v[158:159], v[42:43]
	v_add_f64_e32 v[158:159], v[58:59], v[38:39]
	v_mul_f64_e32 v[38:39], s[38:39], v[222:223]
	v_fma_f64 v[58:59], v[224:225], s[18:19], v[38:39]
	v_fma_f64 v[38:39], v[224:225], s[18:19], -v[38:39]
	s_delay_alu instid0(VALU_DEP_2) | instskip(SKIP_1) | instid1(VALU_DEP_1)
	v_add_f64_e32 v[160:161], v[58:59], v[42:43]
	v_fma_f64 v[42:43], v[130:131], s[10:11], v[44:45]
	v_add_f64_e32 v[14:15], v[42:43], v[14:15]
	v_fma_f64 v[42:43], v[162:163], s[10:11], -v[46:47]
	s_delay_alu instid0(VALU_DEP_1) | instskip(SKIP_1) | instid1(VALU_DEP_1)
	v_add_f64_e32 v[40:41], v[42:43], v[40:41]
	v_fma_f64 v[42:43], v[164:165], s[16:17], v[48:49]
	v_add_f64_e32 v[14:15], v[42:43], v[14:15]
	v_fma_f64 v[42:43], v[200:201], s[16:17], -v[50:51]
	s_delay_alu instid0(VALU_DEP_1) | instskip(SKIP_1) | instid1(VALU_DEP_1)
	v_add_f64_e32 v[40:41], v[42:43], v[40:41]
	v_fma_f64 v[42:43], v[206:207], s[14:15], v[52:53]
	v_add_f64_e32 v[14:15], v[42:43], v[14:15]
	v_fma_f64 v[42:43], v[212:213], s[14:15], -v[54:55]
	s_delay_alu instid0(VALU_DEP_1) | instskip(SKIP_1) | instid1(VALU_DEP_2)
	v_add_f64_e32 v[40:41], v[42:43], v[40:41]
	v_fma_f64 v[42:43], v[218:219], s[18:19], v[56:57]
	v_add_f64_e32 v[156:157], v[38:39], v[40:41]
	s_delay_alu instid0(VALU_DEP_2) | instskip(SKIP_1) | instid1(VALU_DEP_1)
	v_add_f64_e32 v[154:155], v[42:43], v[14:15]
	v_fma_f64 v[14:15], v[130:131], s[16:17], v[16:17]
	v_add_f64_e32 v[2:3], v[14:15], v[2:3]
	v_fma_f64 v[14:15], v[162:163], s[16:17], -v[18:19]
	s_delay_alu instid0(VALU_DEP_1) | instskip(SKIP_1) | instid1(VALU_DEP_1)
	v_add_f64_e32 v[12:13], v[14:15], v[12:13]
	v_fma_f64 v[14:15], v[164:165], s[0:1], v[20:21]
	v_add_f64_e32 v[2:3], v[14:15], v[2:3]
	v_fma_f64 v[14:15], v[200:201], s[0:1], -v[22:23]
	v_mul_f64_e32 v[22:23], s[20:21], v[222:223]
	s_delay_alu instid0(VALU_DEP_2) | instskip(SKIP_1) | instid1(VALU_DEP_1)
	v_add_f64_e32 v[12:13], v[14:15], v[12:13]
	v_fma_f64 v[14:15], v[206:207], s[30:31], v[32:33]
	v_add_f64_e32 v[2:3], v[14:15], v[2:3]
	v_fma_f64 v[14:15], v[212:213], s[30:31], -v[34:35]
	s_delay_alu instid0(VALU_DEP_1) | instskip(SKIP_1) | instid1(VALU_DEP_2)
	v_add_f64_e32 v[12:13], v[14:15], v[12:13]
	v_fma_f64 v[14:15], v[218:219], s[14:15], v[36:37]
	v_add_f64_e32 v[148:149], v[10:11], v[12:13]
	s_delay_alu instid0(VALU_DEP_2) | instskip(SKIP_3) | instid1(VALU_DEP_3)
	v_add_f64_e32 v[146:147], v[14:15], v[2:3]
	v_fma_f64 v[2:3], v[116:117], s[10:11], v[248:249]
	v_fma_f64 v[10:11], v[128:129], s[10:11], -v[185:186]
	v_fma_f64 v[12:13], v[130:131], s[30:31], v[187:188]
	v_add_f64_e32 v[2:3], v[2:3], v[140:141]
	s_delay_alu instid0(VALU_DEP_3) | instskip(NEXT) | instid1(VALU_DEP_2)
	v_add_f64_e32 v[10:11], v[10:11], v[138:139]
	v_add_f64_e32 v[2:3], v[12:13], v[2:3]
	v_fma_f64 v[12:13], v[162:163], s[30:31], -v[250:251]
	s_delay_alu instid0(VALU_DEP_1) | instskip(SKIP_1) | instid1(VALU_DEP_2)
	v_add_f64_e32 v[10:11], v[12:13], v[10:11]
	v_fma_f64 v[12:13], v[164:165], s[18:19], v[252:253]
	v_add_f64_e32 v[0:1], v[0:1], v[10:11]
	s_delay_alu instid0(VALU_DEP_2) | instskip(NEXT) | instid1(VALU_DEP_1)
	v_add_f64_e32 v[2:3], v[12:13], v[2:3]
	v_add_f64_e32 v[2:3], v[4:5], v[2:3]
	v_fma_f64 v[4:5], v[212:213], s[0:1], -v[170:171]
	s_delay_alu instid0(VALU_DEP_1) | instskip(SKIP_2) | instid1(VALU_DEP_3)
	v_add_f64_e32 v[0:1], v[4:5], v[0:1]
	v_fma_f64 v[4:5], v[218:219], s[16:17], v[8:9]
	v_mul_f64_e32 v[8:9], s[26:27], v[144:145]
	v_add_f64_e32 v[140:141], v[6:7], v[0:1]
	v_fma_f64 v[0:1], v[116:117], s[0:1], v[228:229]
	s_delay_alu instid0(VALU_DEP_4)
	v_add_f64_e32 v[138:139], v[4:5], v[2:3]
	v_fma_f64 v[2:3], v[128:129], s[0:1], -v[230:231]
	v_fma_f64 v[4:5], v[130:131], s[14:15], v[232:233]
	v_fma_f64 v[6:7], v[224:225], s[10:11], -v[246:247]
	v_fma_f64 v[10:11], v[130:131], s[18:19], -v[8:9]
	v_add_f64_e32 v[0:1], v[0:1], v[136:137]
	v_add_f64_e32 v[2:3], v[2:3], v[134:135]
	s_delay_alu instid0(VALU_DEP_2) | instskip(SKIP_1) | instid1(VALU_DEP_1)
	v_add_f64_e32 v[0:1], v[4:5], v[0:1]
	v_fma_f64 v[4:5], v[162:163], s[14:15], -v[234:235]
	v_add_f64_e32 v[2:3], v[4:5], v[2:3]
	v_fma_f64 v[4:5], v[164:165], s[30:31], v[236:237]
	s_delay_alu instid0(VALU_DEP_1) | instskip(SKIP_1) | instid1(VALU_DEP_1)
	v_add_f64_e32 v[0:1], v[4:5], v[0:1]
	v_fma_f64 v[4:5], v[200:201], s[30:31], -v[238:239]
	v_add_f64_e32 v[2:3], v[4:5], v[2:3]
	v_fma_f64 v[4:5], v[206:207], s[16:17], v[240:241]
	s_delay_alu instid0(VALU_DEP_1) | instskip(SKIP_1) | instid1(VALU_DEP_1)
	v_add_f64_e32 v[0:1], v[4:5], v[0:1]
	v_fma_f64 v[4:5], v[212:213], s[16:17], -v[242:243]
	v_add_f64_e32 v[2:3], v[4:5], v[2:3]
	v_fma_f64 v[4:5], v[218:219], s[10:11], v[244:245]
	s_delay_alu instid0(VALU_DEP_2) | instskip(NEXT) | instid1(VALU_DEP_2)
	v_add_f64_e32 v[136:137], v[6:7], v[2:3]
	v_add_f64_e32 v[134:135], v[4:5], v[0:1]
	v_fma_f64 v[0:1], v[116:117], s[14:15], v[132:133]
	v_fma_f64 v[2:3], v[128:129], s[14:15], -v[150:151]
	v_fma_f64 v[4:5], v[130:131], s[0:1], v[152:153]
	v_fma_f64 v[6:7], v[224:225], s[30:31], -v[226:227]
	s_delay_alu instid0(VALU_DEP_4) | instskip(NEXT) | instid1(VALU_DEP_4)
	v_add_f64_e32 v[0:1], v[0:1], v[126:127]
	v_add_f64_e32 v[2:3], v[2:3], v[122:123]
	s_delay_alu instid0(VALU_DEP_2) | instskip(SKIP_1) | instid1(VALU_DEP_1)
	v_add_f64_e32 v[0:1], v[4:5], v[0:1]
	v_fma_f64 v[4:5], v[162:163], s[0:1], -v[192:193]
	v_add_f64_e32 v[2:3], v[4:5], v[2:3]
	v_fma_f64 v[4:5], v[164:165], s[10:11], v[196:197]
	s_delay_alu instid0(VALU_DEP_1) | instskip(SKIP_1) | instid1(VALU_DEP_1)
	v_add_f64_e32 v[0:1], v[4:5], v[0:1]
	v_fma_f64 v[4:5], v[200:201], s[10:11], -v[202:203]
	v_add_f64_e32 v[2:3], v[4:5], v[2:3]
	v_fma_f64 v[4:5], v[206:207], s[18:19], v[208:209]
	s_delay_alu instid0(VALU_DEP_1) | instskip(SKIP_1) | instid1(VALU_DEP_1)
	v_add_f64_e32 v[0:1], v[4:5], v[0:1]
	v_fma_f64 v[4:5], v[212:213], s[18:19], -v[214:215]
	v_add_f64_e32 v[2:3], v[4:5], v[2:3]
	v_fma_f64 v[4:5], v[218:219], s[30:31], v[220:221]
	s_delay_alu instid0(VALU_DEP_2) | instskip(NEXT) | instid1(VALU_DEP_2)
	v_add_f64_e32 v[152:153], v[6:7], v[2:3]
	v_add_f64_e32 v[150:151], v[4:5], v[0:1]
	v_mul_f64_e32 v[0:1], s[28:29], v[124:125]
	v_mul_f64_e32 v[4:5], s[28:29], v[142:143]
	s_delay_alu instid0(VALU_DEP_2) | instskip(NEXT) | instid1(VALU_DEP_2)
	v_fma_f64 v[2:3], v[116:117], s[16:17], -v[0:1]
	v_fma_f64 v[6:7], v[128:129], s[16:17], v[4:5]
	v_fma_f64 v[0:1], v[116:117], s[16:17], v[0:1]
	s_delay_alu instid0(VALU_DEP_3) | instskip(NEXT) | instid1(VALU_DEP_3)
	v_add_f64_e32 v[2:3], v[2:3], v[120:121]
	v_add_f64_e32 v[6:7], v[6:7], v[118:119]
	s_delay_alu instid0(VALU_DEP_3) | instskip(NEXT) | instid1(VALU_DEP_3)
	v_add_f64_e32 v[0:1], v[0:1], v[112:113]
	v_add_f64_e32 v[2:3], v[10:11], v[2:3]
	v_mul_f64_e32 v[10:11], s[26:27], v[190:191]
	s_delay_alu instid0(VALU_DEP_1) | instskip(NEXT) | instid1(VALU_DEP_1)
	v_fma_f64 v[12:13], v[162:163], s[18:19], v[10:11]
	v_add_f64_e32 v[6:7], v[12:13], v[6:7]
	v_mul_f64_e32 v[12:13], s[24:25], v[194:195]
	s_delay_alu instid0(VALU_DEP_1) | instskip(NEXT) | instid1(VALU_DEP_1)
	v_fma_f64 v[14:15], v[164:165], s[14:15], -v[12:13]
	v_add_f64_e32 v[2:3], v[14:15], v[2:3]
	v_mul_f64_e32 v[14:15], s[24:25], v[198:199]
	s_delay_alu instid0(VALU_DEP_1) | instskip(NEXT) | instid1(VALU_DEP_1)
	v_fma_f64 v[16:17], v[200:201], s[14:15], v[14:15]
	v_add_f64_e32 v[6:7], v[16:17], v[6:7]
	v_mul_f64_e32 v[16:17], s[22:23], v[204:205]
	s_delay_alu instid0(VALU_DEP_1) | instskip(NEXT) | instid1(VALU_DEP_1)
	v_fma_f64 v[18:19], v[206:207], s[10:11], -v[16:17]
	;; [unrolled: 8-line block ×3, first 2 shown]
	v_add_f64_e32 v[118:119], v[32:33], v[2:3]
	v_fma_f64 v[2:3], v[224:225], s[0:1], v[22:23]
	s_delay_alu instid0(VALU_DEP_1) | instskip(SKIP_2) | instid1(VALU_DEP_2)
	v_add_f64_e32 v[120:121], v[2:3], v[6:7]
	v_add_f64_e32 v[2:3], v[108:109], v[64:65]
	;; [unrolled: 1-line block ×4, first 2 shown]
	s_delay_alu instid0(VALU_DEP_2) | instskip(NEXT) | instid1(VALU_DEP_2)
	v_add_f64_e32 v[6:7], v[6:7], v[74:75]
	v_add_f64_e32 v[2:3], v[2:3], v[82:83]
	s_delay_alu instid0(VALU_DEP_2) | instskip(NEXT) | instid1(VALU_DEP_2)
	v_add_f64_e32 v[6:7], v[6:7], v[80:81]
	v_add_f64_e32 v[2:3], v[2:3], v[84:85]
	s_delay_alu instid0(VALU_DEP_2) | instskip(NEXT) | instid1(VALU_DEP_2)
	v_add_f64_e32 v[6:7], v[6:7], v[86:87]
	v_add_f64_e32 v[2:3], v[2:3], v[88:89]
	s_delay_alu instid0(VALU_DEP_2) | instskip(NEXT) | instid1(VALU_DEP_2)
	v_add_f64_e32 v[6:7], v[6:7], v[90:91]
	v_add_f64_e32 v[2:3], v[2:3], v[92:93]
	s_delay_alu instid0(VALU_DEP_2) | instskip(NEXT) | instid1(VALU_DEP_2)
	v_add_f64_e32 v[6:7], v[6:7], v[94:95]
	v_add_f64_e32 v[2:3], v[2:3], v[104:105]
	s_delay_alu instid0(VALU_DEP_2) | instskip(NEXT) | instid1(VALU_DEP_2)
	v_add_f64_e32 v[6:7], v[6:7], v[106:107]
	v_add_f64_e32 v[2:3], v[2:3], v[78:79]
	s_delay_alu instid0(VALU_DEP_2) | instskip(NEXT) | instid1(VALU_DEP_2)
	v_add_f64_e32 v[6:7], v[6:7], v[76:77]
	v_add_f64_e32 v[2:3], v[2:3], v[70:71]
	s_delay_alu instid0(VALU_DEP_2) | instskip(NEXT) | instid1(VALU_DEP_2)
	v_add_f64_e32 v[6:7], v[6:7], v[68:69]
	v_add_f64_e32 v[2:3], v[2:3], v[30:31]
	s_delay_alu instid0(VALU_DEP_2) | instskip(NEXT) | instid1(VALU_DEP_2)
	v_add_f64_e32 v[6:7], v[6:7], v[28:29]
	v_add_f64_e32 v[24:25], v[2:3], v[24:25]
	v_fma_f64 v[2:3], v[128:129], s[16:17], -v[4:5]
	v_fma_f64 v[4:5], v[130:131], s[18:19], v[8:9]
	v_fma_f64 v[8:9], v[164:165], s[14:15], v[12:13]
	v_add_f64_e32 v[26:27], v[6:7], v[26:27]
	v_fma_f64 v[6:7], v[162:163], s[18:19], -v[10:11]
	v_fma_f64 v[10:11], v[200:201], s[14:15], -v[14:15]
	v_add_f64_e32 v[2:3], v[2:3], v[114:115]
	v_add_f64_e32 v[0:1], v[4:5], v[0:1]
	v_fma_f64 v[4:5], v[206:207], s[10:11], v[16:17]
	s_delay_alu instid0(VALU_DEP_3) | instskip(NEXT) | instid1(VALU_DEP_3)
	v_add_f64_e32 v[2:3], v[6:7], v[2:3]
	v_add_f64_e32 v[0:1], v[8:9], v[0:1]
	v_fma_f64 v[8:9], v[218:219], s[0:1], v[20:21]
	v_fma_f64 v[6:7], v[212:213], s[10:11], -v[18:19]
	s_delay_alu instid0(VALU_DEP_4) | instskip(NEXT) | instid1(VALU_DEP_4)
	v_add_f64_e32 v[2:3], v[10:11], v[2:3]
	v_add_f64_e32 v[0:1], v[4:5], v[0:1]
	v_fma_f64 v[10:11], v[224:225], s[0:1], -v[22:23]
	v_cmp_gt_u16_e64 s0, 17, v254
	s_delay_alu instid0(VALU_DEP_4) | instskip(NEXT) | instid1(VALU_DEP_4)
	v_add_f64_e32 v[2:3], v[6:7], v[2:3]
	v_add_f64_e32 v[104:105], v[8:9], v[0:1]
	s_clause 0x1
	scratch_load_b32 v0, off, off offset:44 th:TH_LOAD_LU
	scratch_load_b32 v1, off, off offset:60 th:TH_LOAD_LU
	global_wb scope:SCOPE_SE
	s_wait_loadcnt 0x0
	s_wait_storecnt 0x0
	s_barrier_signal -1
	s_barrier_wait -1
	global_inv scope:SCOPE_SE
	v_add_f64_e32 v[106:107], v[10:11], v[2:3]
	v_and_b32_e32 v0, 0xffff, v0
	s_delay_alu instid0(VALU_DEP_1) | instskip(NEXT) | instid1(VALU_DEP_1)
	v_mul_u32_u24_e32 v0, 0xdd, v0
	v_add_lshl_u32 v176, v0, v1, 4
	ds_store_b128 v176, v[172:175] offset:544
	ds_store_b128 v176, v[177:180] offset:816
	;; [unrolled: 1-line block ×11, first 2 shown]
	ds_store_b128 v176, v[24:27]
	ds_store_b128 v176, v[104:107] offset:3264
	global_wb scope:SCOPE_SE
	s_wait_dscnt 0x0
	s_barrier_signal -1
	s_barrier_wait -1
	global_inv scope:SCOPE_SE
	ds_load_b128 v[120:123], v255
	ds_load_b128 v[112:115], v255 offset:816
	ds_load_b128 v[148:151], v255 offset:3536
	;; [unrolled: 1-line block ×11, first 2 shown]
	s_and_saveexec_b32 s1, s0
	s_cbranch_execz .LBB0_9
; %bb.8:
	ds_load_b128 v[104:107], v255 offset:3264
	ds_load_b128 v[100:103], v255 offset:6800
	;; [unrolled: 1-line block ×3, first 2 shown]
.LBB0_9:
	s_wait_alu 0xfffe
	s_or_b32 exec_lo, exec_lo, s1
	scratch_load_b32 v4, off, off           ; 4-byte Folded Reload
	s_mov_b32 s11, 0xbfebb67a
	s_wait_loadcnt 0x0
	v_add_co_u32 v0, s1, 0xcc, v4
	s_wait_alu 0xf1ff
	v_add_co_ci_u32_e64 v1, null, 0, 0, s1
	v_add_co_u32 v2, s1, 0xffffffef, v4
	s_wait_alu 0xf1ff
	v_add_co_ci_u32_e64 v3, null, 0, -1, s1
	v_lshlrev_b32_e32 v4, 5, v4
	s_delay_alu instid0(VALU_DEP_3) | instskip(NEXT) | instid1(VALU_DEP_3)
	v_cndmask_b32_e64 v0, v2, v0, s0
	v_cndmask_b32_e64 v1, v3, v1, s0
	s_delay_alu instid0(VALU_DEP_3)
	v_add_nc_u32_e32 v2, 0x660, v4
	v_add_nc_u32_e32 v3, 0xcc0, v4
	s_clause 0x1
	global_load_b128 v[56:59], v4, s[2:3] offset:3264
	global_load_b128 v[52:55], v4, s[2:3] offset:3280
	v_lshlrev_b64_e32 v[0:1], 5, v[0:1]
	s_clause 0x3
	global_load_b128 v[64:67], v2, s[2:3] offset:3280
	global_load_b128 v[92:95], v2, s[2:3] offset:3264
	;; [unrolled: 1-line block ×4, first 2 shown]
	v_add_nc_u32_e32 v2, 0x1320, v4
	v_add_co_u32 v0, s1, s2, v0
	s_wait_alu 0xf1ff
	v_add_co_ci_u32_e64 v1, s1, s3, v1, s1
	s_clause 0x3
	global_load_b128 v[88:91], v2, s[2:3] offset:3264
	global_load_b128 v[68:71], v2, s[2:3] offset:3280
	global_load_b128 v[28:31], v[0:1], off offset:3264
	global_load_b128 v[24:27], v[0:1], off offset:3280
	s_mov_b32 s2, 0xe8584caa
	s_mov_b32 s3, 0x3febb67a
	s_wait_alu 0xfffe
	s_mov_b32 s10, s2
	s_wait_loadcnt_dscnt 0x909
	v_mul_f64_e32 v[0:1], v[150:151], v[58:59]
	s_wait_loadcnt_dscnt 0x807
	v_mul_f64_e32 v[2:3], v[154:155], v[54:55]
	v_mul_f64_e32 v[4:5], v[148:149], v[58:59]
	v_mul_f64_e32 v[6:7], v[152:153], v[54:55]
	s_wait_loadcnt 0x6
	v_mul_f64_e32 v[8:9], v[134:135], v[94:95]
	s_wait_dscnt 0x6
	v_mul_f64_e32 v[10:11], v[138:139], v[66:67]
	v_mul_f64_e32 v[12:13], v[132:133], v[94:95]
	;; [unrolled: 1-line block ×3, first 2 shown]
	s_wait_loadcnt_dscnt 0x403
	v_mul_f64_e32 v[16:17], v[142:143], v[74:75]
	s_wait_dscnt 0x1
	v_mul_f64_e32 v[18:19], v[146:147], v[50:51]
	v_mul_f64_e32 v[20:21], v[140:141], v[74:75]
	;; [unrolled: 1-line block ×3, first 2 shown]
	s_wait_loadcnt 0x3
	v_mul_f64_e32 v[32:33], v[126:127], v[90:91]
	s_wait_loadcnt_dscnt 0x200
	v_mul_f64_e32 v[34:35], v[130:131], v[70:71]
	v_mul_f64_e32 v[36:37], v[124:125], v[90:91]
	;; [unrolled: 1-line block ×3, first 2 shown]
	s_wait_loadcnt 0x1
	v_mul_f64_e32 v[40:41], v[102:103], v[30:31]
	s_wait_loadcnt 0x0
	v_mul_f64_e32 v[42:43], v[98:99], v[26:27]
	v_mul_f64_e32 v[44:45], v[100:101], v[30:31]
	;; [unrolled: 1-line block ×3, first 2 shown]
	s_clause 0x7
	scratch_store_b128 off, v[56:59], off offset:284
	scratch_store_b128 off, v[64:67], off offset:300
	;; [unrolled: 1-line block ×8, first 2 shown]
	v_fma_f64 v[0:1], v[148:149], v[56:57], -v[0:1]
	v_fma_f64 v[2:3], v[152:153], v[52:53], -v[2:3]
	v_fma_f64 v[4:5], v[150:151], v[56:57], v[4:5]
	v_fma_f64 v[6:7], v[154:155], v[52:53], v[6:7]
	v_fma_f64 v[8:9], v[132:133], v[92:93], -v[8:9]
	v_fma_f64 v[10:11], v[136:137], v[64:65], -v[10:11]
	v_fma_f64 v[12:13], v[134:135], v[92:93], v[12:13]
	v_fma_f64 v[14:15], v[138:139], v[64:65], v[14:15]
	;; [unrolled: 4-line block ×5, first 2 shown]
	v_add_f64_e32 v[124:125], v[120:121], v[0:1]
	v_add_f64_e32 v[48:49], v[0:1], v[2:3]
	v_add_f64_e64 v[0:1], v[0:1], -v[2:3]
	v_add_f64_e32 v[50:51], v[4:5], v[6:7]
	v_add_f64_e64 v[126:127], v[4:5], -v[6:7]
	v_add_f64_e32 v[52:53], v[8:9], v[10:11]
	v_add_f64_e32 v[4:5], v[122:123], v[4:5]
	;; [unrolled: 1-line block ×17, first 2 shown]
	v_add_f64_e64 v[12:13], v[12:13], -v[14:15]
	v_add_f64_e64 v[8:9], v[8:9], -v[10:11]
	;; [unrolled: 1-line block ×8, first 2 shown]
	v_fma_f64 v[48:49], v[48:49], -0.5, v[120:121]
	v_fma_f64 v[50:51], v[50:51], -0.5, v[122:123]
	;; [unrolled: 1-line block ×4, first 2 shown]
	v_add_f64_e32 v[136:137], v[128:129], v[10:11]
	v_fma_f64 v[56:57], v[56:57], -0.5, v[116:117]
	v_add_f64_e32 v[138:139], v[130:131], v[14:15]
	v_fma_f64 v[58:59], v[58:59], -0.5, v[118:119]
	;; [unrolled: 2-line block ×6, first 2 shown]
	v_add_f64_e32 v[106:107], v[4:5], v[6:7]
	v_add_f64_e32 v[130:131], v[142:143], v[38:39]
	v_add_f64_e32 v[116:117], v[144:145], v[42:43]
	v_add_f64_e32 v[118:119], v[146:147], v[46:47]
	v_fma_f64 v[132:133], v[126:127], s[2:3], v[48:49]
	s_wait_alu 0xfffe
	v_fma_f64 v[140:141], v[126:127], s[10:11], v[48:49]
	v_fma_f64 v[134:135], v[0:1], s[10:11], v[50:51]
	;; [unrolled: 1-line block ×19, first 2 shown]
	ds_store_b128 v255, v[104:107]
	ds_store_b128 v255, v[136:139] offset:816
	ds_store_b128 v255, v[132:135] offset:3536
	;; [unrolled: 1-line block ×11, first 2 shown]
	s_and_saveexec_b32 s1, s0
	s_cbranch_execz .LBB0_11
; %bb.10:
	ds_store_b128 v255, v[116:119] offset:3264
	ds_store_b128 v255, v[112:115] offset:6800
	;; [unrolled: 1-line block ×3, first 2 shown]
.LBB0_11:
	s_wait_alu 0xfffe
	s_or_b32 exec_lo, exec_lo, s1
	global_wb scope:SCOPE_SE
	s_wait_storecnt_dscnt 0x0
	s_barrier_signal -1
	s_barrier_wait -1
	global_inv scope:SCOPE_SE
	s_and_saveexec_b32 s1, vcc_lo
	s_cbranch_execz .LBB0_13
; %bb.12:
	global_load_b128 v[96:99], v255, s[8:9] offset:10608
	s_add_nc_u64 s[2:3], s[8:9], 0x2970
	s_clause 0x3
	global_load_b128 v[100:103], v255, s[2:3] offset:624
	global_load_b128 v[164:167], v255, s[2:3] offset:1248
	;; [unrolled: 1-line block ×4, first 2 shown]
	ds_load_b128 v[177:180], v255
	ds_load_b128 v[181:184], v255 offset:624
	ds_load_b128 v[185:188], v255 offset:9984
	s_wait_loadcnt_dscnt 0x301
	v_mul_f64_e32 v[4:5], v[183:184], v[102:103]
	v_mul_f64_e32 v[0:1], v[179:180], v[98:99]
	;; [unrolled: 1-line block ×4, first 2 shown]
	s_delay_alu instid0(VALU_DEP_4) | instskip(NEXT) | instid1(VALU_DEP_4)
	v_fma_f64 v[181:182], v[181:182], v[100:101], -v[4:5]
	v_fma_f64 v[177:178], v[177:178], v[96:97], -v[0:1]
	s_delay_alu instid0(VALU_DEP_4)
	v_fma_f64 v[179:180], v[179:180], v[96:97], v[2:3]
	ds_load_b128 v[96:99], v255 offset:1248
	ds_load_b128 v[189:192], v255 offset:1872
	v_fma_f64 v[183:184], v[183:184], v[100:101], v[6:7]
	global_load_b128 v[100:103], v255, s[2:3] offset:3120
	s_wait_loadcnt_dscnt 0x301
	v_mul_f64_e32 v[0:1], v[98:99], v[166:167]
	v_mul_f64_e32 v[2:3], v[96:97], v[166:167]
	s_wait_loadcnt_dscnt 0x200
	v_mul_f64_e32 v[4:5], v[191:192], v[170:171]
	v_mul_f64_e32 v[6:7], v[189:190], v[170:171]
	s_delay_alu instid0(VALU_DEP_4) | instskip(NEXT) | instid1(VALU_DEP_4)
	v_fma_f64 v[96:97], v[96:97], v[164:165], -v[0:1]
	v_fma_f64 v[98:99], v[98:99], v[164:165], v[2:3]
	ds_load_b128 v[164:167], v255 offset:2496
	v_fma_f64 v[189:190], v[189:190], v[168:169], -v[4:5]
	v_fma_f64 v[191:192], v[191:192], v[168:169], v[6:7]
	ds_load_b128 v[168:171], v255 offset:3120
	s_wait_loadcnt_dscnt 0x101
	v_mul_f64_e32 v[0:1], v[166:167], v[174:175]
	v_mul_f64_e32 v[2:3], v[164:165], v[174:175]
	s_delay_alu instid0(VALU_DEP_2) | instskip(NEXT) | instid1(VALU_DEP_2)
	v_fma_f64 v[164:165], v[164:165], v[172:173], -v[0:1]
	v_fma_f64 v[166:167], v[166:167], v[172:173], v[2:3]
	global_load_b128 v[172:175], v255, s[2:3] offset:3744
	s_wait_loadcnt_dscnt 0x100
	v_mul_f64_e32 v[0:1], v[170:171], v[102:103]
	v_mul_f64_e32 v[2:3], v[168:169], v[102:103]
	s_delay_alu instid0(VALU_DEP_2) | instskip(NEXT) | instid1(VALU_DEP_2)
	v_fma_f64 v[168:169], v[168:169], v[100:101], -v[0:1]
	v_fma_f64 v[170:171], v[170:171], v[100:101], v[2:3]
	ds_load_b128 v[100:103], v255 offset:3744
	ds_load_b128 v[193:196], v255 offset:4368
	s_wait_loadcnt_dscnt 0x1
	v_mul_f64_e32 v[0:1], v[102:103], v[174:175]
	v_mul_f64_e32 v[2:3], v[100:101], v[174:175]
	s_delay_alu instid0(VALU_DEP_2) | instskip(NEXT) | instid1(VALU_DEP_2)
	v_fma_f64 v[100:101], v[100:101], v[172:173], -v[0:1]
	v_fma_f64 v[102:103], v[102:103], v[172:173], v[2:3]
	s_clause 0x1
	global_load_b128 v[172:175], v255, s[2:3] offset:4368
	global_load_b128 v[197:200], v255, s[2:3] offset:4992
	s_wait_loadcnt_dscnt 0x100
	v_mul_f64_e32 v[0:1], v[195:196], v[174:175]
	v_mul_f64_e32 v[2:3], v[193:194], v[174:175]
	s_delay_alu instid0(VALU_DEP_2) | instskip(NEXT) | instid1(VALU_DEP_2)
	v_fma_f64 v[193:194], v[193:194], v[172:173], -v[0:1]
	v_fma_f64 v[195:196], v[195:196], v[172:173], v[2:3]
	ds_load_b128 v[172:175], v255 offset:4992
	ds_load_b128 v[201:204], v255 offset:5616
	s_wait_loadcnt_dscnt 0x1
	v_mul_f64_e32 v[0:1], v[174:175], v[199:200]
	v_mul_f64_e32 v[2:3], v[172:173], v[199:200]
	s_delay_alu instid0(VALU_DEP_2) | instskip(NEXT) | instid1(VALU_DEP_2)
	v_fma_f64 v[172:173], v[172:173], v[197:198], -v[0:1]
	v_fma_f64 v[174:175], v[174:175], v[197:198], v[2:3]
	s_clause 0x1
	global_load_b128 v[197:200], v255, s[2:3] offset:5616
	global_load_b128 v[205:208], v255, s[2:3] offset:6240
	ds_load_b128 v[209:212], v255 offset:6240
	ds_load_b128 v[213:216], v255 offset:6864
	s_wait_loadcnt_dscnt 0x102
	v_mul_f64_e32 v[0:1], v[203:204], v[199:200]
	v_mul_f64_e32 v[2:3], v[201:202], v[199:200]
	s_delay_alu instid0(VALU_DEP_2) | instskip(SKIP_2) | instid1(VALU_DEP_3)
	v_fma_f64 v[199:200], v[201:202], v[197:198], -v[0:1]
	s_wait_loadcnt_dscnt 0x1
	v_mul_f64_e32 v[0:1], v[211:212], v[207:208]
	v_fma_f64 v[201:202], v[203:204], v[197:198], v[2:3]
	v_mul_f64_e32 v[2:3], v[209:210], v[207:208]
	s_delay_alu instid0(VALU_DEP_3)
	v_fma_f64 v[203:204], v[209:210], v[205:206], -v[0:1]
	s_clause 0x1
	global_load_b128 v[207:210], v255, s[2:3] offset:6864
	global_load_b128 v[217:220], v255, s[2:3] offset:7488
	v_fma_f64 v[205:206], v[211:212], v[205:206], v[2:3]
	s_wait_loadcnt_dscnt 0x100
	v_mul_f64_e32 v[0:1], v[215:216], v[209:210]
	v_mul_f64_e32 v[2:3], v[213:214], v[209:210]
	s_delay_alu instid0(VALU_DEP_2) | instskip(NEXT) | instid1(VALU_DEP_2)
	v_fma_f64 v[209:210], v[213:214], v[207:208], -v[0:1]
	v_fma_f64 v[211:212], v[215:216], v[207:208], v[2:3]
	ds_load_b128 v[213:216], v255 offset:7488
	ds_load_b128 v[221:224], v255 offset:8112
	s_wait_loadcnt_dscnt 0x1
	v_mul_f64_e32 v[0:1], v[215:216], v[219:220]
	v_mul_f64_e32 v[2:3], v[213:214], v[219:220]
	s_delay_alu instid0(VALU_DEP_2) | instskip(NEXT) | instid1(VALU_DEP_2)
	v_fma_f64 v[213:214], v[213:214], v[217:218], -v[0:1]
	v_fma_f64 v[215:216], v[215:216], v[217:218], v[2:3]
	s_clause 0x1
	global_load_b128 v[217:220], v255, s[2:3] offset:8112
	global_load_b128 v[225:228], v255, s[2:3] offset:8736
	ds_load_b128 v[229:232], v255 offset:8736
	ds_load_b128 v[233:236], v255 offset:9360
	s_wait_loadcnt_dscnt 0x102
	v_mul_f64_e32 v[0:1], v[223:224], v[219:220]
	v_mul_f64_e32 v[2:3], v[221:222], v[219:220]
	s_delay_alu instid0(VALU_DEP_2) | instskip(SKIP_2) | instid1(VALU_DEP_3)
	v_fma_f64 v[219:220], v[221:222], v[217:218], -v[0:1]
	s_wait_loadcnt_dscnt 0x1
	v_mul_f64_e32 v[0:1], v[231:232], v[227:228]
	v_fma_f64 v[221:222], v[223:224], v[217:218], v[2:3]
	v_mul_f64_e32 v[2:3], v[229:230], v[227:228]
	s_delay_alu instid0(VALU_DEP_3)
	v_fma_f64 v[223:224], v[229:230], v[225:226], -v[0:1]
	s_clause 0x1
	global_load_b128 v[227:230], v255, s[2:3] offset:9360
	global_load_b128 v[237:240], v255, s[2:3] offset:9984
	v_fma_f64 v[225:226], v[231:232], v[225:226], v[2:3]
	s_wait_loadcnt_dscnt 0x100
	v_mul_f64_e32 v[0:1], v[235:236], v[229:230]
	v_mul_f64_e32 v[2:3], v[233:234], v[229:230]
	s_delay_alu instid0(VALU_DEP_2) | instskip(NEXT) | instid1(VALU_DEP_2)
	v_fma_f64 v[229:230], v[233:234], v[227:228], -v[0:1]
	v_fma_f64 v[231:232], v[235:236], v[227:228], v[2:3]
	s_wait_loadcnt 0x0
	v_mul_f64_e32 v[0:1], v[187:188], v[239:240]
	v_mul_f64_e32 v[2:3], v[185:186], v[239:240]
	s_delay_alu instid0(VALU_DEP_2) | instskip(NEXT) | instid1(VALU_DEP_2)
	v_fma_f64 v[185:186], v[185:186], v[237:238], -v[0:1]
	v_fma_f64 v[187:188], v[187:188], v[237:238], v[2:3]
	ds_store_b128 v255, v[177:180]
	ds_store_b128 v255, v[181:184] offset:624
	ds_store_b128 v255, v[96:99] offset:1248
	;; [unrolled: 1-line block ×16, first 2 shown]
.LBB0_13:
	s_wait_alu 0xfffe
	s_or_b32 exec_lo, exec_lo, s1
	global_wb scope:SCOPE_SE
	s_wait_dscnt 0x0
	s_barrier_signal -1
	s_barrier_wait -1
	global_inv scope:SCOPE_SE
	s_and_saveexec_b32 s1, vcc_lo
	s_cbranch_execz .LBB0_15
; %bb.14:
	ds_load_b128 v[104:107], v255
	ds_load_b128 v[132:135], v255 offset:624
	ds_load_b128 v[140:143], v255 offset:1248
	;; [unrolled: 1-line block ×15, first 2 shown]
	s_wait_dscnt 0x0
	scratch_store_b128 off, v[0:3], off offset:28 ; 16-byte Folded Spill
	ds_load_b128 v[0:3], v255 offset:9984
	s_wait_dscnt 0x0
	scratch_store_b128 off, v[0:3], off offset:12 ; 16-byte Folded Spill
.LBB0_15:
	s_wait_alu 0xfffe
	s_or_b32 exec_lo, exec_lo, s1
	s_clause 0x1
	scratch_load_b128 v[6:9], off, off offset:12
	scratch_load_b128 v[10:13], off, off offset:28
	s_mov_b32 s14, 0x7c9e640b
	s_mov_b32 s15, 0xbfeca52d
	;; [unrolled: 1-line block ×8, first 2 shown]
	v_add_f64_e64 v[177:178], v[138:139], -v[110:111]
	s_mov_b32 s22, 0xacd6c6b4
	s_mov_b32 s23, 0xbfc7851a
	;; [unrolled: 1-line block ×3, first 2 shown]
	s_wait_alu 0xfffe
	s_mov_b32 s46, s22
	v_add_f64_e32 v[168:169], v[136:137], v[108:109]
	v_add_f64_e32 v[172:173], v[138:139], v[110:111]
	s_mov_b32 s18, 0x7faef3
	s_mov_b32 s19, 0xbfef7484
	v_add_f64_e64 v[191:192], v[136:137], -v[108:109]
	v_add_f64_e64 v[187:188], v[150:151], -v[114:115]
	s_mov_b32 s28, 0x923c349f
	s_mov_b32 s29, 0x3feec746
	v_add_f64_e32 v[174:175], v[148:149], v[112:113]
	v_add_f64_e32 v[181:182], v[150:151], v[114:115]
	s_mov_b32 s20, 0xc61f0d01
	s_mov_b32 s21, 0xbfd183b1
	v_add_f64_e64 v[205:206], v[148:149], -v[112:113]
	v_add_f64_e64 v[201:202], v[158:159], -v[118:119]
	s_mov_b32 s36, 0x2a9d6da3
	;; [unrolled: 8-line block ×3, first 2 shown]
	s_mov_b32 s41, 0x3fd71e95
	s_mov_b32 s39, 0xbfd71e95
	s_wait_alu 0xfffe
	s_mov_b32 s38, s40
	v_add_f64_e32 v[189:190], v[152:153], v[120:121]
	v_add_f64_e32 v[193:194], v[154:155], v[122:123]
	s_mov_b32 s26, 0x370991
	s_mov_b32 s27, 0x3fedd6d0
	v_add_f64_e64 v[213:214], v[152:153], -v[120:121]
	v_add_f64_e64 v[211:212], v[162:163], -v[126:127]
	s_mov_b32 s42, 0xeb564b22
	v_mul_f64_e32 v[28:29], s[46:47], v[177:178]
	s_mov_b32 s43, 0xbfefdd0d
	v_add_f64_e32 v[195:196], v[160:161], v[124:125]
	v_add_f64_e32 v[197:198], v[162:163], v[126:127]
	s_mov_b32 s30, 0x3259b75e
	s_mov_b32 s31, 0x3fb79ee6
	v_mul_f64_e32 v[64:65], s[18:19], v[172:173]
	v_add_f64_e64 v[217:218], v[160:161], -v[124:125]
	v_add_f64_e64 v[215:216], v[146:147], -v[130:131]
	s_mov_b32 s44, 0x4363dd80
	v_mul_f64_e32 v[30:31], s[28:29], v[187:188]
	s_mov_b32 s45, 0xbfe0d888
	v_add_f64_e32 v[199:200], v[144:145], v[128:129]
	v_add_f64_e32 v[203:204], v[146:147], v[130:131]
	v_mul_f64_e32 v[66:67], s[20:21], v[181:182]
	s_mov_b32 s34, 0x910ea3b9
	s_mov_b32 s35, 0xbfeb34fa
	v_add_f64_e64 v[219:220], v[144:145], -v[128:129]
	v_mul_f64_e32 v[68:69], s[36:37], v[201:202]
	v_mul_f64_e32 v[82:83], s[28:29], v[177:178]
	;; [unrolled: 1-line block ×5, first 2 shown]
	s_wait_alu 0xfffe
	v_mul_f64_e32 v[225:226], s[26:27], v[181:182]
	v_mul_f64_e32 v[251:252], s[14:15], v[201:202]
	v_mul_f64_e32 v[231:232], s[2:3], v[185:186]
	v_mul_f64_e32 v[72:73], s[38:39], v[207:208]
	v_mul_f64_e32 v[241:242], s[44:45], v[207:208]
	s_mov_b32 s49, 0x3fe9895b
	s_mov_b32 s48, s16
	v_mul_f64_e32 v[78:79], s[26:27], v[193:194]
	v_mul_f64_e32 v[221:222], s[34:35], v[193:194]
	;; [unrolled: 1-line block ×3, first 2 shown]
	s_wait_alu 0xfffe
	v_mul_f64_e32 v[243:244], s[48:49], v[211:212]
	v_mul_f64_e32 v[84:85], s[30:31], v[197:198]
	;; [unrolled: 1-line block ×7, first 2 shown]
	s_wait_loadcnt 0x1
	v_add_f64_e64 v[229:230], v[134:135], -v[8:9]
	v_add_f64_e32 v[227:228], v[132:133], v[6:7]
	s_wait_loadcnt 0x0
	v_add_f64_e64 v[170:171], v[142:143], -v[12:13]
	v_add_f64_e32 v[164:165], v[140:141], v[10:11]
	v_add_f64_e32 v[245:246], v[134:135], v[8:9]
	v_add_f64_e64 v[253:254], v[132:133], -v[6:7]
	v_add_f64_e32 v[166:167], v[142:143], v[12:13]
	v_add_f64_e64 v[179:180], v[140:141], -v[10:11]
	v_mul_f64_e32 v[18:19], s[14:15], v[229:230]
	v_mul_f64_e32 v[233:234], s[42:43], v[229:230]
	;; [unrolled: 1-line block ×8, first 2 shown]
	v_fma_f64 v[0:1], v[227:228], s[2:3], -v[18:19]
	v_fma_f64 v[2:3], v[164:165], s[10:11], -v[24:25]
	s_delay_alu instid0(VALU_DEP_4) | instskip(NEXT) | instid1(VALU_DEP_3)
	v_fma_f64 v[4:5], v[179:180], s[16:17], v[26:27]
	v_add_f64_e32 v[0:1], v[104:105], v[0:1]
	s_delay_alu instid0(VALU_DEP_1) | instskip(SKIP_1) | instid1(VALU_DEP_1)
	v_add_f64_e32 v[0:1], v[2:3], v[0:1]
	v_fma_f64 v[2:3], v[253:254], s[14:15], v[239:240]
	v_add_f64_e32 v[2:3], v[106:107], v[2:3]
	s_delay_alu instid0(VALU_DEP_1) | instskip(SKIP_1) | instid1(VALU_DEP_1)
	v_add_f64_e32 v[2:3], v[4:5], v[2:3]
	v_fma_f64 v[4:5], v[168:169], s[18:19], -v[28:29]
	v_add_f64_e32 v[0:1], v[4:5], v[0:1]
	v_fma_f64 v[4:5], v[191:192], s[46:47], v[64:65]
	s_delay_alu instid0(VALU_DEP_1) | instskip(SKIP_1) | instid1(VALU_DEP_1)
	v_add_f64_e32 v[2:3], v[4:5], v[2:3]
	v_fma_f64 v[4:5], v[174:175], s[20:21], -v[30:31]
	v_add_f64_e32 v[0:1], v[4:5], v[0:1]
	v_fma_f64 v[4:5], v[205:206], s[28:29], v[66:67]
	;; [unrolled: 5-line block ×6, first 2 shown]
	v_fma_f64 v[4:5], v[179:180], s[22:23], v[86:87]
	s_delay_alu instid0(VALU_DEP_2) | instskip(SKIP_4) | instid1(VALU_DEP_1)
	v_add_f64_e32 v[16:17], v[0:1], v[2:3]
	v_fma_f64 v[0:1], v[227:228], s[30:31], -v[233:234]
	v_fma_f64 v[2:3], v[164:165], s[18:19], -v[76:77]
	scratch_store_b128 off, v[14:17], off offset:44 ; 16-byte Folded Spill
	v_add_f64_e32 v[0:1], v[104:105], v[0:1]
	v_add_f64_e32 v[0:1], v[2:3], v[0:1]
	v_fma_f64 v[2:3], v[253:254], s[42:43], v[235:236]
	s_delay_alu instid0(VALU_DEP_1) | instskip(NEXT) | instid1(VALU_DEP_1)
	v_add_f64_e32 v[2:3], v[106:107], v[2:3]
	v_add_f64_e32 v[2:3], v[4:5], v[2:3]
	v_fma_f64 v[4:5], v[168:169], s[20:21], -v[82:83]
	s_delay_alu instid0(VALU_DEP_1) | instskip(SKIP_1) | instid1(VALU_DEP_1)
	v_add_f64_e32 v[0:1], v[4:5], v[0:1]
	v_fma_f64 v[4:5], v[191:192], s[28:29], v[247:248]
	v_add_f64_e32 v[2:3], v[4:5], v[2:3]
	v_fma_f64 v[4:5], v[174:175], s[26:27], -v[96:97]
	s_delay_alu instid0(VALU_DEP_1) | instskip(SKIP_1) | instid1(VALU_DEP_1)
	v_add_f64_e32 v[0:1], v[4:5], v[0:1]
	v_fma_f64 v[4:5], v[205:206], s[40:41], v[225:226]
	;; [unrolled: 5-line block ×6, first 2 shown]
	v_add_f64_e32 v[16:17], v[0:1], v[2:3]
	scratch_store_b128 off, v[14:17], off offset:60 ; 16-byte Folded Spill
	global_wb scope:SCOPE_SE
	s_wait_storecnt 0x0
	s_barrier_signal -1
	s_barrier_wait -1
	global_inv scope:SCOPE_SE
	s_and_saveexec_b32 s1, vcc_lo
	s_cbranch_execz .LBB0_17
; %bb.16:
	v_add_f64_e32 v[0:1], v[106:107], v[134:135]
	v_add_f64_e32 v[2:3], v[104:105], v[132:133]
	s_mov_b32 s55, 0xbfeec746
	s_mov_b32 s54, s28
	;; [unrolled: 1-line block ×4, first 2 shown]
	v_mul_f64_e32 v[44:45], s[22:23], v[229:230]
	v_mul_f64_e32 v[46:47], s[44:45], v[229:230]
	;; [unrolled: 1-line block ×4, first 2 shown]
	s_wait_alu 0xfffe
	v_mul_f64_e32 v[52:53], s[54:55], v[229:230]
	v_mul_f64_e32 v[54:55], s[56:57], v[229:230]
	;; [unrolled: 1-line block ×6, first 2 shown]
	s_mov_b32 s53, 0x3feca52d
	s_mov_b32 s52, s14
	;; [unrolled: 1-line block ×4, first 2 shown]
	v_mul_f64_e32 v[229:230], s[44:45], v[217:218]
	s_wait_alu 0xfffe
	v_mul_f64_e32 v[134:135], s[50:51], v[215:216]
	v_add_f64_e32 v[0:1], v[0:1], v[142:143]
	v_add_f64_e32 v[2:3], v[2:3], v[140:141]
	v_mul_f64_e32 v[140:141], s[50:51], v[209:210]
	v_mul_f64_e32 v[142:143], s[50:51], v[201:202]
	v_fma_f64 v[56:57], v[227:228], s[18:19], -v[44:45]
	v_fma_f64 v[44:45], v[227:228], s[18:19], v[44:45]
	v_fma_f64 v[58:59], v[227:228], s[34:35], -v[46:47]
	v_fma_f64 v[46:47], v[227:228], s[34:35], v[46:47]
	v_fma_f64 v[34:35], v[245:246], s[34:35], v[14:15]
	v_fma_f64 v[14:15], v[245:246], s[34:35], -v[14:15]
	v_fma_f64 v[36:37], v[245:246], s[10:11], v[16:17]
	v_fma_f64 v[16:17], v[245:246], s[10:11], -v[16:17]
	;; [unrolled: 2-line block ×4, first 2 shown]
	v_add_f64_e32 v[0:1], v[0:1], v[138:139]
	v_add_f64_e32 v[2:3], v[2:3], v[136:137]
	v_mul_f64_e32 v[136:137], s[44:45], v[205:206]
	v_mul_f64_e32 v[138:139], s[44:45], v[187:188]
	v_add_f64_e32 v[56:57], v[104:105], v[56:57]
	v_add_f64_e32 v[44:45], v[104:105], v[44:45]
	;; [unrolled: 1-line block ×14, first 2 shown]
	v_mul_f64_e32 v[150:151], s[56:57], v[207:208]
	s_delay_alu instid0(VALU_DEP_3) | instskip(NEXT) | instid1(VALU_DEP_3)
	v_add_f64_e32 v[0:1], v[0:1], v[158:159]
	v_add_f64_e32 v[2:3], v[2:3], v[156:157]
	v_mul_f64_e32 v[156:157], s[42:43], v[187:188]
	v_mul_f64_e32 v[158:159], s[54:55], v[209:210]
	s_delay_alu instid0(VALU_DEP_4) | instskip(NEXT) | instid1(VALU_DEP_4)
	v_add_f64_e32 v[0:1], v[0:1], v[154:155]
	v_add_f64_e32 v[2:3], v[2:3], v[152:153]
	v_mul_f64_e32 v[154:155], s[42:43], v[205:206]
	s_delay_alu instid0(VALU_DEP_3) | instskip(NEXT) | instid1(VALU_DEP_3)
	v_add_f64_e32 v[0:1], v[0:1], v[162:163]
	v_add_f64_e32 v[2:3], v[2:3], v[160:161]
	v_mul_f64_e32 v[160:161], s[54:55], v[201:202]
	v_mul_f64_e32 v[162:163], s[16:17], v[213:214]
	s_delay_alu instid0(VALU_DEP_4) | instskip(NEXT) | instid1(VALU_DEP_4)
	v_add_f64_e32 v[0:1], v[0:1], v[146:147]
	v_add_f64_e32 v[2:3], v[2:3], v[144:145]
	v_mul_f64_e32 v[146:147], s[56:57], v[213:214]
	s_delay_alu instid0(VALU_DEP_3) | instskip(NEXT) | instid1(VALU_DEP_3)
	v_add_f64_e32 v[0:1], v[0:1], v[130:131]
	v_add_f64_e32 v[2:3], v[2:3], v[128:129]
	v_mul_f64_e32 v[130:131], s[50:51], v[219:220]
	s_delay_alu instid0(VALU_DEP_3) | instskip(NEXT) | instid1(VALU_DEP_3)
	v_add_f64_e32 v[0:1], v[0:1], v[126:127]
	v_add_f64_e32 v[2:3], v[2:3], v[124:125]
	s_delay_alu instid0(VALU_DEP_2) | instskip(NEXT) | instid1(VALU_DEP_2)
	v_add_f64_e32 v[0:1], v[0:1], v[122:123]
	v_add_f64_e32 v[2:3], v[2:3], v[120:121]
	s_delay_alu instid0(VALU_DEP_2) | instskip(NEXT) | instid1(VALU_DEP_2)
	;; [unrolled: 3-line block ×3, first 2 shown]
	v_add_f64_e32 v[0:1], v[0:1], v[114:115]
	v_add_f64_e32 v[2:3], v[2:3], v[112:113]
	v_fma_f64 v[112:113], v[227:228], s[20:21], -v[52:53]
	v_fma_f64 v[52:53], v[227:228], s[20:21], v[52:53]
	v_fma_f64 v[114:115], v[227:228], s[24:25], -v[54:55]
	v_fma_f64 v[54:55], v[227:228], s[24:25], v[54:55]
	v_add_f64_e32 v[0:1], v[0:1], v[110:111]
	v_add_f64_e32 v[2:3], v[2:3], v[108:109]
	v_fma_f64 v[108:109], v[227:228], s[10:11], -v[48:49]
	v_fma_f64 v[48:49], v[227:228], s[10:11], v[48:49]
	v_fma_f64 v[110:111], v[227:228], s[26:27], -v[50:51]
	v_fma_f64 v[50:51], v[227:228], s[26:27], v[50:51]
	v_add_f64_e32 v[144:145], v[104:105], v[112:113]
	v_add_f64_e32 v[52:53], v[104:105], v[52:53]
	;; [unrolled: 1-line block ×6, first 2 shown]
	v_mul_f64_e32 v[10:11], s[2:3], v[227:228]
	v_mul_f64_e32 v[12:13], s[22:23], v[253:254]
	v_add_f64_e32 v[132:133], v[104:105], v[108:109]
	v_add_f64_e32 v[48:49], v[104:105], v[48:49]
	;; [unrolled: 1-line block ×6, first 2 shown]
	v_mul_f64_e32 v[6:7], s[30:31], v[227:228]
	v_mul_f64_e32 v[4:5], s[42:43], v[253:254]
	v_add_f64_e32 v[10:11], v[10:11], v[18:19]
	v_fma_f64 v[32:33], v[245:246], s[18:19], v[12:13]
	v_mul_f64_e32 v[8:9], s[14:15], v[253:254]
	v_mul_f64_e32 v[18:19], s[38:39], v[253:254]
	v_fma_f64 v[12:13], v[245:246], s[18:19], -v[12:13]
	v_mul_f64_e32 v[227:228], s[16:17], v[207:208]
	v_mul_f64_e32 v[253:254], s[54:55], v[219:220]
	v_add_f64_e32 v[6:7], v[6:7], v[233:234]
	v_add_f64_e64 v[4:5], v[235:236], -v[4:5]
	v_add_f64_e32 v[10:11], v[104:105], v[10:11]
	v_add_f64_e32 v[32:33], v[106:107], v[32:33]
	v_add_f64_e64 v[8:9], v[239:240], -v[8:9]
	v_fma_f64 v[38:39], v[245:246], s[26:27], v[18:19]
	v_fma_f64 v[18:19], v[245:246], s[26:27], -v[18:19]
	v_add_f64_e32 v[12:13], v[106:107], v[12:13]
	v_mul_f64_e32 v[233:234], s[44:45], v[211:212]
	v_mul_f64_e32 v[235:236], s[22:23], v[219:220]
	;; [unrolled: 1-line block ×4, first 2 shown]
	v_add_f64_e32 v[118:119], v[104:105], v[6:7]
	v_mul_f64_e32 v[104:105], s[40:41], v[179:180]
	v_add_f64_e32 v[116:117], v[106:107], v[4:5]
	v_add_f64_e32 v[8:9], v[106:107], v[8:9]
	;; [unrolled: 1-line block ×4, first 2 shown]
	v_fma_f64 v[4:5], v[166:167], s[26:27], v[104:105]
	v_fma_f64 v[104:105], v[166:167], s[26:27], -v[104:105]
	s_delay_alu instid0(VALU_DEP_2) | instskip(SKIP_1) | instid1(VALU_DEP_3)
	v_add_f64_e32 v[4:5], v[4:5], v[32:33]
	v_mul_f64_e32 v[32:33], s[40:41], v[170:171]
	v_add_f64_e32 v[12:13], v[104:105], v[12:13]
	s_delay_alu instid0(VALU_DEP_2) | instskip(SKIP_1) | instid1(VALU_DEP_2)
	v_fma_f64 v[6:7], v[164:165], s[26:27], -v[32:33]
	v_fma_f64 v[32:33], v[164:165], s[26:27], v[32:33]
	v_add_f64_e32 v[6:7], v[6:7], v[56:57]
	v_mul_f64_e32 v[56:57], s[44:45], v[191:192]
	s_delay_alu instid0(VALU_DEP_3) | instskip(NEXT) | instid1(VALU_DEP_2)
	v_add_f64_e32 v[32:33], v[32:33], v[44:45]
	v_fma_f64 v[106:107], v[172:173], s[34:35], v[56:57]
	v_fma_f64 v[44:45], v[172:173], s[34:35], -v[56:57]
	v_fma_f64 v[56:57], v[199:200], s[30:31], v[134:135]
	s_delay_alu instid0(VALU_DEP_3) | instskip(SKIP_1) | instid1(VALU_DEP_4)
	v_add_f64_e32 v[4:5], v[106:107], v[4:5]
	v_mul_f64_e32 v[106:107], s[44:45], v[177:178]
	v_add_f64_e32 v[12:13], v[44:45], v[12:13]
	s_delay_alu instid0(VALU_DEP_2) | instskip(SKIP_1) | instid1(VALU_DEP_2)
	v_fma_f64 v[108:109], v[168:169], s[34:35], -v[106:107]
	v_fma_f64 v[44:45], v[168:169], s[34:35], v[106:107]
	v_add_f64_e32 v[6:7], v[108:109], v[6:7]
	v_mul_f64_e32 v[108:109], s[36:37], v[205:206]
	s_delay_alu instid0(VALU_DEP_3) | instskip(NEXT) | instid1(VALU_DEP_2)
	v_add_f64_e32 v[32:33], v[44:45], v[32:33]
	v_fma_f64 v[110:111], v[181:182], s[24:25], v[108:109]
	v_fma_f64 v[44:45], v[181:182], s[24:25], -v[108:109]
	s_delay_alu instid0(VALU_DEP_2) | instskip(SKIP_1) | instid1(VALU_DEP_3)
	v_add_f64_e32 v[4:5], v[110:111], v[4:5]
	v_mul_f64_e32 v[110:111], s[36:37], v[187:188]
	v_add_f64_e32 v[12:13], v[44:45], v[12:13]
	s_delay_alu instid0(VALU_DEP_2) | instskip(SKIP_1) | instid1(VALU_DEP_2)
	v_fma_f64 v[112:113], v[174:175], s[24:25], -v[110:111]
	v_fma_f64 v[44:45], v[174:175], s[24:25], v[110:111]
	v_add_f64_e32 v[6:7], v[112:113], v[6:7]
	v_mul_f64_e32 v[112:113], s[16:17], v[209:210]
	s_delay_alu instid0(VALU_DEP_3) | instskip(NEXT) | instid1(VALU_DEP_2)
	v_add_f64_e32 v[32:33], v[44:45], v[32:33]
	v_fma_f64 v[114:115], v[185:186], s[10:11], v[112:113]
	v_fma_f64 v[44:45], v[185:186], s[10:11], -v[112:113]
	v_mul_f64_e32 v[112:113], s[16:17], v[179:180]
	s_delay_alu instid0(VALU_DEP_3) | instskip(SKIP_1) | instid1(VALU_DEP_4)
	v_add_f64_e32 v[4:5], v[114:115], v[4:5]
	v_mul_f64_e32 v[114:115], s[16:17], v[201:202]
	v_add_f64_e32 v[12:13], v[44:45], v[12:13]
	s_delay_alu instid0(VALU_DEP_4) | instskip(NEXT) | instid1(VALU_DEP_3)
	v_add_f64_e64 v[112:113], v[26:27], -v[112:113]
	v_fma_f64 v[120:121], v[183:184], s[10:11], -v[114:115]
	v_fma_f64 v[44:45], v[183:184], s[10:11], v[114:115]
	v_mul_f64_e32 v[114:115], s[18:19], v[168:169]
	s_delay_alu instid0(VALU_DEP_4)
	v_add_f64_e32 v[8:9], v[112:113], v[8:9]
	v_mul_f64_e32 v[112:113], s[26:27], v[189:190]
	v_add_f64_e32 v[6:7], v[120:121], v[6:7]
	v_mul_f64_e32 v[120:121], s[52:53], v[213:214]
	v_add_f64_e32 v[32:33], v[44:45], v[32:33]
	v_add_f64_e32 v[114:115], v[114:115], v[28:29]
	;; [unrolled: 1-line block ×3, first 2 shown]
	s_delay_alu instid0(VALU_DEP_4) | instskip(SKIP_2) | instid1(VALU_DEP_3)
	v_fma_f64 v[122:123], v[193:194], s[2:3], v[120:121]
	v_fma_f64 v[44:45], v[193:194], s[2:3], -v[120:121]
	v_mul_f64_e32 v[120:121], s[10:11], v[164:165]
	v_add_f64_e32 v[4:5], v[122:123], v[4:5]
	v_mul_f64_e32 v[122:123], s[52:53], v[207:208]
	s_delay_alu instid0(VALU_DEP_4) | instskip(NEXT) | instid1(VALU_DEP_4)
	v_add_f64_e32 v[12:13], v[44:45], v[12:13]
	v_add_f64_e32 v[120:121], v[120:121], v[24:25]
	s_delay_alu instid0(VALU_DEP_3) | instskip(SKIP_2) | instid1(VALU_DEP_4)
	v_fma_f64 v[124:125], v[189:190], s[2:3], -v[122:123]
	v_fma_f64 v[44:45], v[189:190], s[2:3], v[122:123]
	v_mul_f64_e32 v[122:123], s[28:29], v[205:206]
	v_add_f64_e32 v[10:11], v[120:121], v[10:11]
	v_mul_f64_e32 v[120:121], s[44:45], v[219:220]
	v_add_f64_e32 v[6:7], v[124:125], v[6:7]
	;; [unrolled: 2-line block ×3, first 2 shown]
	v_add_f64_e64 v[122:123], v[66:67], -v[122:123]
	v_add_f64_e32 v[10:11], v[114:115], v[10:11]
	v_mul_f64_e32 v[114:115], s[30:31], v[195:196]
	v_add_f64_e64 v[120:121], v[98:99], -v[120:121]
	v_fma_f64 v[126:127], v[197:198], s[20:21], v[124:125]
	v_fma_f64 v[44:45], v[197:198], s[20:21], -v[124:125]
	v_mul_f64_e32 v[124:125], s[20:21], v[174:175]
	v_add_f64_e32 v[114:115], v[114:115], v[74:75]
	s_delay_alu instid0(VALU_DEP_4) | instskip(SKIP_3) | instid1(VALU_DEP_3)
	v_add_f64_e32 v[4:5], v[126:127], v[4:5]
	v_mul_f64_e32 v[126:127], s[54:55], v[211:212]
	v_add_f64_e32 v[12:13], v[44:45], v[12:13]
	v_add_f64_e32 v[124:125], v[124:125], v[30:31]
	v_fma_f64 v[44:45], v[195:196], s[20:21], v[126:127]
	v_fma_f64 v[128:129], v[195:196], s[20:21], -v[126:127]
	v_mul_f64_e32 v[126:127], s[36:37], v[209:210]
	s_delay_alu instid0(VALU_DEP_4)
	v_add_f64_e32 v[10:11], v[124:125], v[10:11]
	v_mul_f64_e32 v[124:125], s[20:21], v[168:169]
	v_add_f64_e32 v[32:33], v[44:45], v[32:33]
	v_fma_f64 v[44:45], v[203:204], s[30:31], -v[130:131]
	v_add_f64_e32 v[128:129], v[128:129], v[6:7]
	v_fma_f64 v[6:7], v[203:204], s[30:31], v[130:131]
	v_add_f64_e64 v[126:127], v[70:71], -v[126:127]
	v_mul_f64_e32 v[130:131], s[38:39], v[213:214]
	v_add_f64_e32 v[124:125], v[124:125], v[82:83]
	v_add_f64_e32 v[104:105], v[56:57], v[32:33]
	;; [unrolled: 1-line block ×3, first 2 shown]
	v_mul_f64_e32 v[12:13], s[56:57], v[179:180]
	v_add_f64_e32 v[6:7], v[6:7], v[4:5]
	v_fma_f64 v[4:5], v[199:200], s[30:31], -v[134:135]
	v_add_f64_e64 v[130:131], v[78:79], -v[130:131]
	v_mul_f64_e32 v[134:135], s[38:39], v[177:178]
	v_fma_f64 v[32:33], v[166:167], s[24:25], -v[12:13]
	s_delay_alu instid0(VALU_DEP_4) | instskip(SKIP_1) | instid1(VALU_DEP_3)
	v_add_f64_e32 v[4:5], v[4:5], v[128:129]
	v_mul_f64_e32 v[128:129], s[24:25], v[183:184]
	v_add_f64_e32 v[18:19], v[32:33], v[18:19]
	v_mul_f64_e32 v[32:33], s[56:57], v[170:171]
	s_delay_alu instid0(VALU_DEP_3) | instskip(NEXT) | instid1(VALU_DEP_2)
	v_add_f64_e32 v[128:129], v[128:129], v[68:69]
	v_fma_f64 v[44:45], v[164:165], s[24:25], v[32:33]
	s_delay_alu instid0(VALU_DEP_2) | instskip(SKIP_1) | instid1(VALU_DEP_3)
	v_add_f64_e32 v[10:11], v[128:129], v[10:11]
	v_mul_f64_e32 v[128:129], s[26:27], v[174:175]
	v_add_f64_e32 v[44:45], v[44:45], v[50:51]
	v_mul_f64_e32 v[50:51], s[14:15], v[191:192]
	s_delay_alu instid0(VALU_DEP_4) | instskip(SKIP_2) | instid1(VALU_DEP_4)
	v_add_f64_e32 v[10:11], v[112:113], v[10:11]
	v_mul_f64_e32 v[112:113], s[34:35], v[199:200]
	v_add_f64_e32 v[128:129], v[128:129], v[96:97]
	v_fma_f64 v[56:57], v[172:173], s[2:3], -v[50:51]
	s_delay_alu instid0(VALU_DEP_4) | instskip(NEXT) | instid1(VALU_DEP_4)
	v_add_f64_e32 v[10:11], v[114:115], v[10:11]
	v_add_f64_e32 v[112:113], v[112:113], v[80:81]
	s_delay_alu instid0(VALU_DEP_3) | instskip(SKIP_1) | instid1(VALU_DEP_3)
	v_add_f64_e32 v[18:19], v[56:57], v[18:19]
	v_mul_f64_e32 v[56:57], s[14:15], v[177:178]
	v_add_f64_e32 v[112:113], v[112:113], v[10:11]
	v_mul_f64_e32 v[10:11], s[40:41], v[205:206]
	s_delay_alu instid0(VALU_DEP_3) | instskip(NEXT) | instid1(VALU_DEP_2)
	v_fma_f64 v[108:109], v[168:169], s[2:3], v[56:57]
	v_add_f64_e64 v[10:11], v[225:226], -v[10:11]
	v_mul_f64_e32 v[225:226], s[52:53], v[219:220]
	s_delay_alu instid0(VALU_DEP_3) | instskip(SKIP_1) | instid1(VALU_DEP_1)
	v_add_f64_e32 v[44:45], v[108:109], v[44:45]
	v_fma_f64 v[108:109], v[181:182], s[30:31], -v[154:155]
	v_add_f64_e32 v[18:19], v[108:109], v[18:19]
	v_fma_f64 v[108:109], v[174:175], s[30:31], v[156:157]
	s_delay_alu instid0(VALU_DEP_1) | instskip(SKIP_1) | instid1(VALU_DEP_1)
	v_add_f64_e32 v[44:45], v[108:109], v[44:45]
	v_fma_f64 v[108:109], v[185:186], s[20:21], -v[158:159]
	v_add_f64_e32 v[18:19], v[108:109], v[18:19]
	v_fma_f64 v[108:109], v[183:184], s[20:21], v[160:161]
	s_delay_alu instid0(VALU_DEP_1) | instskip(SKIP_1) | instid1(VALU_DEP_1)
	v_add_f64_e32 v[44:45], v[108:109], v[44:45]
	v_fma_f64 v[108:109], v[193:194], s[10:11], -v[162:163]
	v_add_f64_e32 v[18:19], v[108:109], v[18:19]
	v_fma_f64 v[108:109], v[189:190], s[10:11], v[227:228]
	s_delay_alu instid0(VALU_DEP_1) | instskip(SKIP_1) | instid1(VALU_DEP_1)
	v_add_f64_e32 v[44:45], v[108:109], v[44:45]
	v_fma_f64 v[108:109], v[197:198], s[34:35], -v[229:230]
	v_add_f64_e32 v[18:19], v[108:109], v[18:19]
	v_fma_f64 v[108:109], v[195:196], s[34:35], v[233:234]
	s_delay_alu instid0(VALU_DEP_1) | instskip(SKIP_1) | instid1(VALU_DEP_1)
	v_add_f64_e32 v[44:45], v[108:109], v[44:45]
	v_fma_f64 v[108:109], v[203:204], s[18:19], -v[235:236]
	v_add_f64_e32 v[110:111], v[108:109], v[18:19]
	v_mul_f64_e32 v[18:19], s[22:23], v[215:216]
	s_delay_alu instid0(VALU_DEP_1) | instskip(NEXT) | instid1(VALU_DEP_1)
	v_fma_f64 v[108:109], v[199:200], s[18:19], v[18:19]
	v_add_f64_e32 v[108:109], v[108:109], v[44:45]
	v_mul_f64_e32 v[44:45], s[46:47], v[191:192]
	s_delay_alu instid0(VALU_DEP_1) | instskip(NEXT) | instid1(VALU_DEP_1)
	v_add_f64_e64 v[44:45], v[64:65], -v[44:45]
	v_add_f64_e32 v[8:9], v[44:45], v[8:9]
	v_mul_f64_e32 v[44:45], s[42:43], v[217:218]
	s_delay_alu instid0(VALU_DEP_2) | instskip(NEXT) | instid1(VALU_DEP_2)
	v_add_f64_e32 v[8:9], v[122:123], v[8:9]
	v_add_f64_e64 v[44:45], v[84:85], -v[44:45]
	v_mul_f64_e32 v[122:123], s[2:3], v[183:184]
	s_delay_alu instid0(VALU_DEP_3) | instskip(SKIP_1) | instid1(VALU_DEP_3)
	v_add_f64_e32 v[8:9], v[126:127], v[8:9]
	v_mul_f64_e32 v[126:127], s[18:19], v[164:165]
	v_add_f64_e32 v[122:123], v[122:123], v[251:252]
	v_mul_f64_e32 v[251:252], s[36:37], v[211:212]
	s_delay_alu instid0(VALU_DEP_4) | instskip(NEXT) | instid1(VALU_DEP_4)
	v_add_f64_e32 v[8:9], v[130:131], v[8:9]
	v_add_f64_e32 v[126:127], v[126:127], v[76:77]
	v_mul_f64_e32 v[130:131], s[44:45], v[213:214]
	s_mov_b32 s45, 0x3fe0d888
	s_delay_alu instid0(VALU_DEP_3) | instskip(SKIP_1) | instid1(VALU_DEP_4)
	v_add_f64_e32 v[8:9], v[44:45], v[8:9]
	v_mul_f64_e32 v[44:45], s[28:29], v[191:192]
	v_add_f64_e32 v[118:119], v[126:127], v[118:119]
	s_delay_alu instid0(VALU_DEP_4)
	v_add_f64_e64 v[130:131], v[221:222], -v[130:131]
	v_mul_f64_e32 v[221:222], s[22:23], v[217:218]
	v_add_f64_e32 v[114:115], v[120:121], v[8:9]
	v_mul_f64_e32 v[120:121], s[22:23], v[179:180]
	v_add_f64_e64 v[44:45], v[247:248], -v[44:45]
	v_mul_f64_e32 v[8:9], s[14:15], v[209:210]
	v_mul_f64_e32 v[247:248], s[22:23], v[207:208]
	s_delay_alu instid0(VALU_DEP_4) | instskip(NEXT) | instid1(VALU_DEP_3)
	v_add_f64_e64 v[120:121], v[86:87], -v[120:121]
	v_add_f64_e64 v[8:9], v[231:232], -v[8:9]
	v_mul_f64_e32 v[231:232], s[42:43], v[177:178]
	s_delay_alu instid0(VALU_DEP_3) | instskip(SKIP_1) | instid1(VALU_DEP_2)
	v_add_f64_e32 v[116:117], v[120:121], v[116:117]
	v_mul_f64_e32 v[120:121], s[34:35], v[189:190]
	v_add_f64_e32 v[44:45], v[44:45], v[116:117]
	v_add_f64_e32 v[116:117], v[124:125], v[118:119]
	v_mul_f64_e32 v[118:119], s[48:49], v[217:218]
	s_delay_alu instid0(VALU_DEP_4)
	v_add_f64_e32 v[120:121], v[120:121], v[241:242]
	v_mul_f64_e32 v[241:242], s[38:39], v[209:210]
	v_add_f64_e32 v[10:11], v[10:11], v[44:45]
	v_add_f64_e32 v[44:45], v[128:129], v[116:117]
	v_add_f64_e64 v[118:119], v[223:224], -v[118:119]
	v_mul_f64_e32 v[116:117], s[10:11], v[195:196]
	v_mul_f64_e32 v[223:224], s[22:23], v[211:212]
	;; [unrolled: 1-line block ×3, first 2 shown]
	v_add_f64_e32 v[8:9], v[8:9], v[10:11]
	v_add_f64_e32 v[10:11], v[122:123], v[44:45]
	v_mul_f64_e32 v[44:45], s[36:37], v[219:220]
	v_add_f64_e32 v[116:117], v[116:117], v[243:244]
	v_mul_f64_e32 v[243:244], s[38:39], v[201:202]
	v_add_f64_e32 v[8:9], v[130:131], v[8:9]
	v_add_f64_e32 v[10:11], v[120:121], v[10:11]
	v_add_f64_e64 v[44:45], v[249:250], -v[44:45]
	v_mul_f64_e32 v[120:121], s[24:25], v[199:200]
	v_mul_f64_e32 v[130:131], s[42:43], v[191:192]
	;; [unrolled: 1-line block ×3, first 2 shown]
	v_add_f64_e32 v[8:9], v[118:119], v[8:9]
	v_add_f64_e32 v[10:11], v[116:117], v[10:11]
	;; [unrolled: 1-line block ×3, first 2 shown]
	v_mul_f64_e32 v[237:238], s[48:49], v[205:206]
	s_delay_alu instid0(VALU_DEP_4) | instskip(SKIP_1) | instid1(VALU_DEP_4)
	v_add_f64_e32 v[118:119], v[44:45], v[8:9]
	v_mul_f64_e32 v[8:9], s[28:29], v[179:180]
	v_add_f64_e32 v[116:117], v[120:121], v[10:11]
	s_delay_alu instid0(VALU_DEP_2) | instskip(SKIP_1) | instid1(VALU_DEP_2)
	v_fma_f64 v[10:11], v[166:167], s[20:21], -v[8:9]
	v_fma_f64 v[8:9], v[166:167], s[20:21], v[8:9]
	v_add_f64_e32 v[10:11], v[10:11], v[16:17]
	v_mul_f64_e32 v[16:17], s[28:29], v[170:171]
	s_delay_alu instid0(VALU_DEP_3) | instskip(NEXT) | instid1(VALU_DEP_2)
	v_add_f64_e32 v[8:9], v[8:9], v[36:37]
	v_fma_f64 v[44:45], v[164:165], s[20:21], v[16:17]
	s_delay_alu instid0(VALU_DEP_1) | instskip(SKIP_1) | instid1(VALU_DEP_1)
	v_add_f64_e32 v[44:45], v[44:45], v[48:49]
	v_mul_f64_e32 v[48:49], s[38:39], v[191:192]
	v_fma_f64 v[120:121], v[172:173], s[26:27], -v[48:49]
	s_delay_alu instid0(VALU_DEP_1) | instskip(SKIP_1) | instid1(VALU_DEP_1)
	v_add_f64_e32 v[10:11], v[120:121], v[10:11]
	v_fma_f64 v[120:121], v[168:169], s[26:27], v[134:135]
	v_add_f64_e32 v[44:45], v[120:121], v[44:45]
	v_fma_f64 v[120:121], v[181:182], s[34:35], -v[136:137]
	s_delay_alu instid0(VALU_DEP_1) | instskip(SKIP_1) | instid1(VALU_DEP_1)
	v_add_f64_e32 v[10:11], v[120:121], v[10:11]
	v_fma_f64 v[120:121], v[174:175], s[34:35], v[138:139]
	v_add_f64_e32 v[44:45], v[120:121], v[44:45]
	;; [unrolled: 5-line block ×5, first 2 shown]
	v_fma_f64 v[120:121], v[203:204], s[2:3], -v[225:226]
	s_delay_alu instid0(VALU_DEP_1) | instskip(SKIP_1) | instid1(VALU_DEP_1)
	v_add_f64_e32 v[122:123], v[120:121], v[10:11]
	v_mul_f64_e32 v[10:11], s[52:53], v[215:216]
	v_fma_f64 v[120:121], v[199:200], s[2:3], v[10:11]
	v_fma_f64 v[10:11], v[199:200], s[2:3], -v[10:11]
	s_delay_alu instid0(VALU_DEP_2) | instskip(SKIP_1) | instid1(VALU_DEP_1)
	v_add_f64_e32 v[120:121], v[120:121], v[44:45]
	v_mul_f64_e32 v[44:45], s[52:53], v[179:180]
	v_fma_f64 v[124:125], v[166:167], s[2:3], -v[44:45]
	v_fma_f64 v[44:45], v[166:167], s[2:3], v[44:45]
	s_delay_alu instid0(VALU_DEP_2) | instskip(SKIP_1) | instid1(VALU_DEP_3)
	v_add_f64_e32 v[14:15], v[124:125], v[14:15]
	v_fma_f64 v[124:125], v[164:165], s[2:3], v[128:129]
	v_add_f64_e32 v[34:35], v[44:45], v[34:35]
	v_fma_f64 v[44:45], v[164:165], s[2:3], -v[128:129]
	s_delay_alu instid0(VALU_DEP_3) | instskip(SKIP_1) | instid1(VALU_DEP_3)
	v_add_f64_e32 v[46:47], v[124:125], v[46:47]
	v_fma_f64 v[124:125], v[172:173], s[30:31], -v[130:131]
	v_add_f64_e32 v[44:45], v[44:45], v[58:59]
	s_delay_alu instid0(VALU_DEP_2) | instskip(SKIP_1) | instid1(VALU_DEP_1)
	v_add_f64_e32 v[14:15], v[124:125], v[14:15]
	v_fma_f64 v[124:125], v[168:169], s[30:31], v[231:232]
	v_add_f64_e32 v[46:47], v[124:125], v[46:47]
	v_fma_f64 v[124:125], v[181:182], s[10:11], -v[237:238]
	s_delay_alu instid0(VALU_DEP_1) | instskip(SKIP_1) | instid1(VALU_DEP_1)
	v_add_f64_e32 v[14:15], v[124:125], v[14:15]
	v_fma_f64 v[124:125], v[174:175], s[10:11], v[239:240]
	v_add_f64_e32 v[46:47], v[124:125], v[46:47]
	v_fma_f64 v[124:125], v[185:186], s[26:27], -v[241:242]
	s_delay_alu instid0(VALU_DEP_1) | instskip(SKIP_1) | instid1(VALU_DEP_1)
	;; [unrolled: 5-line block ×5, first 2 shown]
	v_add_f64_e32 v[126:127], v[124:125], v[14:15]
	v_mul_f64_e32 v[14:15], s[54:55], v[215:216]
	v_fma_f64 v[124:125], v[199:200], s[20:21], v[14:15]
	v_fma_f64 v[14:15], v[199:200], s[20:21], -v[14:15]
	s_delay_alu instid0(VALU_DEP_2) | instskip(SKIP_1) | instid1(VALU_DEP_1)
	v_add_f64_e32 v[124:125], v[124:125], v[46:47]
	v_fma_f64 v[46:47], v[172:173], s[30:31], v[130:131]
	v_add_f64_e32 v[34:35], v[46:47], v[34:35]
	v_fma_f64 v[46:47], v[168:169], s[30:31], -v[231:232]
	s_delay_alu instid0(VALU_DEP_1) | instskip(SKIP_1) | instid1(VALU_DEP_1)
	v_add_f64_e32 v[44:45], v[46:47], v[44:45]
	v_fma_f64 v[46:47], v[181:182], s[10:11], v[237:238]
	v_add_f64_e32 v[34:35], v[46:47], v[34:35]
	v_fma_f64 v[46:47], v[174:175], s[10:11], -v[239:240]
	s_delay_alu instid0(VALU_DEP_1) | instskip(SKIP_1) | instid1(VALU_DEP_1)
	v_add_f64_e32 v[44:45], v[46:47], v[44:45]
	v_fma_f64 v[46:47], v[185:186], s[26:27], v[241:242]
	v_add_f64_e32 v[34:35], v[46:47], v[34:35]
	v_fma_f64 v[46:47], v[183:184], s[26:27], -v[243:244]
	s_delay_alu instid0(VALU_DEP_1) | instskip(SKIP_1) | instid1(VALU_DEP_1)
	v_add_f64_e32 v[44:45], v[46:47], v[44:45]
	v_fma_f64 v[46:47], v[193:194], s[18:19], v[245:246]
	v_add_f64_e32 v[34:35], v[46:47], v[34:35]
	v_fma_f64 v[46:47], v[189:190], s[18:19], -v[247:248]
	s_delay_alu instid0(VALU_DEP_1) | instskip(SKIP_1) | instid1(VALU_DEP_1)
	v_add_f64_e32 v[44:45], v[46:47], v[44:45]
	v_fma_f64 v[46:47], v[197:198], s[24:25], v[249:250]
	v_add_f64_e32 v[34:35], v[46:47], v[34:35]
	v_fma_f64 v[46:47], v[195:196], s[24:25], -v[251:252]
	s_delay_alu instid0(VALU_DEP_1) | instskip(SKIP_1) | instid1(VALU_DEP_2)
	v_add_f64_e32 v[44:45], v[46:47], v[44:45]
	v_fma_f64 v[46:47], v[203:204], s[20:21], v[253:254]
	v_add_f64_e32 v[128:129], v[14:15], v[44:45]
	v_fma_f64 v[14:15], v[164:165], s[20:21], -v[16:17]
	v_fma_f64 v[16:17], v[172:173], s[26:27], v[48:49]
	s_delay_alu instid0(VALU_DEP_4) | instskip(NEXT) | instid1(VALU_DEP_3)
	v_add_f64_e32 v[130:131], v[46:47], v[34:35]
	v_add_f64_e32 v[14:15], v[14:15], v[132:133]
	s_delay_alu instid0(VALU_DEP_3) | instskip(SKIP_1) | instid1(VALU_DEP_1)
	v_add_f64_e32 v[8:9], v[16:17], v[8:9]
	v_fma_f64 v[16:17], v[168:169], s[26:27], -v[134:135]
	v_add_f64_e32 v[14:15], v[16:17], v[14:15]
	v_fma_f64 v[16:17], v[181:182], s[34:35], v[136:137]
	s_delay_alu instid0(VALU_DEP_1) | instskip(SKIP_1) | instid1(VALU_DEP_1)
	v_add_f64_e32 v[8:9], v[16:17], v[8:9]
	v_fma_f64 v[16:17], v[174:175], s[34:35], -v[138:139]
	v_add_f64_e32 v[14:15], v[16:17], v[14:15]
	v_fma_f64 v[16:17], v[185:186], s[30:31], v[140:141]
	s_delay_alu instid0(VALU_DEP_1) | instskip(SKIP_1) | instid1(VALU_DEP_1)
	v_add_f64_e32 v[8:9], v[16:17], v[8:9]
	v_fma_f64 v[16:17], v[183:184], s[30:31], -v[142:143]
	v_add_f64_e32 v[14:15], v[16:17], v[14:15]
	v_fma_f64 v[16:17], v[193:194], s[24:25], v[146:147]
	s_wait_alu 0xfffe
	v_mul_f64_e32 v[146:147], s[44:45], v[170:171]
	s_delay_alu instid0(VALU_DEP_2) | instskip(SKIP_2) | instid1(VALU_DEP_2)
	v_add_f64_e32 v[8:9], v[16:17], v[8:9]
	v_fma_f64 v[16:17], v[189:190], s[24:25], -v[150:151]
	v_mul_f64_e32 v[150:151], s[52:53], v[217:218]
	v_add_f64_e32 v[14:15], v[16:17], v[14:15]
	v_fma_f64 v[16:17], v[197:198], s[18:19], v[221:222]
	v_mul_f64_e32 v[221:222], s[52:53], v[211:212]
	v_mul_f64_e32 v[211:212], s[38:39], v[211:212]
	s_delay_alu instid0(VALU_DEP_3) | instskip(SKIP_2) | instid1(VALU_DEP_2)
	v_add_f64_e32 v[8:9], v[16:17], v[8:9]
	v_fma_f64 v[16:17], v[195:196], s[18:19], -v[223:224]
	v_mul_f64_e32 v[223:224], s[40:41], v[219:220]
	v_add_f64_e32 v[14:15], v[16:17], v[14:15]
	v_fma_f64 v[16:17], v[203:204], s[2:3], v[225:226]
	s_delay_alu instid0(VALU_DEP_2) | instskip(NEXT) | instid1(VALU_DEP_2)
	v_add_f64_e32 v[132:133], v[10:11], v[14:15]
	v_add_f64_e32 v[134:135], v[16:17], v[8:9]
	v_mul_f64_e32 v[8:9], s[42:43], v[179:180]
	v_mul_f64_e32 v[14:15], s[42:43], v[170:171]
	;; [unrolled: 1-line block ×3, first 2 shown]
	s_delay_alu instid0(VALU_DEP_3) | instskip(NEXT) | instid1(VALU_DEP_3)
	v_fma_f64 v[10:11], v[166:167], s[30:31], -v[8:9]
	v_fma_f64 v[16:17], v[164:165], s[30:31], v[14:15]
	v_fma_f64 v[8:9], v[166:167], s[30:31], v[8:9]
	v_fma_f64 v[14:15], v[164:165], s[30:31], -v[14:15]
	s_delay_alu instid0(VALU_DEP_4)
	v_add_f64_e32 v[10:11], v[10:11], v[22:23]
	v_mul_f64_e32 v[22:23], s[16:17], v[191:192]
	v_add_f64_e32 v[16:17], v[16:17], v[54:55]
	v_mul_f64_e32 v[191:192], s[22:23], v[209:210]
	v_add_f64_e32 v[8:9], v[8:9], v[42:43]
	v_add_f64_e32 v[14:15], v[14:15], v[148:149]
	v_fma_f64 v[34:35], v[172:173], s[10:11], -v[22:23]
	s_delay_alu instid0(VALU_DEP_1) | instskip(SKIP_2) | instid1(VALU_DEP_2)
	v_add_f64_e32 v[10:11], v[34:35], v[10:11]
	v_mul_f64_e32 v[34:35], s[16:17], v[177:178]
	v_mul_f64_e32 v[177:178], s[36:37], v[177:178]
	v_fma_f64 v[36:37], v[168:169], s[10:11], v[34:35]
	s_delay_alu instid0(VALU_DEP_1) | instskip(SKIP_1) | instid1(VALU_DEP_1)
	v_add_f64_e32 v[16:17], v[36:37], v[16:17]
	v_mul_f64_e32 v[36:37], s[22:23], v[205:206]
	v_fma_f64 v[44:45], v[181:182], s[18:19], -v[36:37]
	s_delay_alu instid0(VALU_DEP_1) | instskip(SKIP_2) | instid1(VALU_DEP_2)
	v_add_f64_e32 v[10:11], v[44:45], v[10:11]
	v_mul_f64_e32 v[44:45], s[22:23], v[187:188]
	v_mul_f64_e32 v[187:188], s[14:15], v[187:188]
	v_fma_f64 v[46:47], v[174:175], s[18:19], v[44:45]
	s_delay_alu instid0(VALU_DEP_1) | instskip(SKIP_2) | instid1(VALU_DEP_2)
	v_add_f64_e32 v[16:17], v[46:47], v[16:17]
	v_mul_f64_e32 v[46:47], s[44:45], v[209:210]
	v_mul_f64_e32 v[209:210], s[38:39], v[217:218]
	v_fma_f64 v[48:49], v[185:186], s[34:35], -v[46:47]
	s_delay_alu instid0(VALU_DEP_1) | instskip(SKIP_2) | instid1(VALU_DEP_2)
	v_add_f64_e32 v[10:11], v[48:49], v[10:11]
	v_mul_f64_e32 v[48:49], s[44:45], v[201:202]
	v_mul_f64_e32 v[201:202], s[22:23], v[201:202]
	v_fma_f64 v[54:55], v[183:184], s[34:35], v[48:49]
	s_delay_alu instid0(VALU_DEP_1) | instskip(SKIP_1) | instid1(VALU_DEP_1)
	v_add_f64_e32 v[16:17], v[54:55], v[16:17]
	v_mul_f64_e32 v[54:55], s[28:29], v[213:214]
	v_fma_f64 v[58:59], v[193:194], s[20:21], -v[54:55]
	s_delay_alu instid0(VALU_DEP_1) | instskip(SKIP_2) | instid1(VALU_DEP_2)
	v_add_f64_e32 v[10:11], v[58:59], v[10:11]
	v_mul_f64_e32 v[58:59], s[28:29], v[207:208]
	v_mul_f64_e32 v[207:208], s[50:51], v[207:208]
	v_fma_f64 v[136:137], v[189:190], s[20:21], v[58:59]
	s_delay_alu instid0(VALU_DEP_1) | instskip(SKIP_1) | instid1(VALU_DEP_1)
	v_add_f64_e32 v[16:17], v[136:137], v[16:17]
	v_fma_f64 v[136:137], v[197:198], s[2:3], -v[150:151]
	v_add_f64_e32 v[10:11], v[136:137], v[10:11]
	v_fma_f64 v[136:137], v[195:196], s[2:3], v[221:222]
	s_delay_alu instid0(VALU_DEP_1) | instskip(SKIP_1) | instid1(VALU_DEP_1)
	v_add_f64_e32 v[16:17], v[136:137], v[16:17]
	v_fma_f64 v[136:137], v[203:204], s[26:27], -v[223:224]
	v_add_f64_e32 v[138:139], v[136:137], v[10:11]
	v_mul_f64_e32 v[10:11], s[40:41], v[215:216]
	v_mul_f64_e32 v[215:216], s[16:17], v[215:216]
	s_delay_alu instid0(VALU_DEP_2) | instskip(SKIP_1) | instid1(VALU_DEP_2)
	v_fma_f64 v[136:137], v[199:200], s[26:27], v[10:11]
	v_fma_f64 v[10:11], v[199:200], s[26:27], -v[10:11]
	v_add_f64_e32 v[136:137], v[136:137], v[16:17]
	v_mul_f64_e32 v[16:17], s[44:45], v[179:180]
	v_mul_f64_e32 v[179:180], s[14:15], v[205:206]
	;; [unrolled: 1-line block ×4, first 2 shown]
	s_delay_alu instid0(VALU_DEP_4) | instskip(SKIP_1) | instid1(VALU_DEP_2)
	v_fma_f64 v[140:141], v[166:167], s[34:35], -v[16:17]
	v_fma_f64 v[16:17], v[166:167], s[34:35], v[16:17]
	v_add_f64_e32 v[20:21], v[140:141], v[20:21]
	v_fma_f64 v[140:141], v[164:165], s[34:35], v[146:147]
	s_delay_alu instid0(VALU_DEP_3) | instskip(SKIP_1) | instid1(VALU_DEP_3)
	v_add_f64_e32 v[16:17], v[16:17], v[40:41]
	v_fma_f64 v[40:41], v[172:173], s[24:25], v[170:171]
	v_add_f64_e32 v[52:53], v[140:141], v[52:53]
	v_fma_f64 v[140:141], v[172:173], s[24:25], -v[170:171]
	s_delay_alu instid0(VALU_DEP_3) | instskip(SKIP_1) | instid1(VALU_DEP_3)
	v_add_f64_e32 v[16:17], v[40:41], v[16:17]
	v_fma_f64 v[40:41], v[168:169], s[24:25], -v[177:178]
	v_add_f64_e32 v[20:21], v[140:141], v[20:21]
	v_fma_f64 v[140:141], v[168:169], s[24:25], v[177:178]
	s_delay_alu instid0(VALU_DEP_1) | instskip(SKIP_1) | instid1(VALU_DEP_1)
	v_add_f64_e32 v[52:53], v[140:141], v[52:53]
	v_fma_f64 v[140:141], v[181:182], s[2:3], -v[179:180]
	v_add_f64_e32 v[20:21], v[140:141], v[20:21]
	v_fma_f64 v[140:141], v[174:175], s[2:3], v[187:188]
	s_delay_alu instid0(VALU_DEP_1) | instskip(SKIP_1) | instid1(VALU_DEP_1)
	;; [unrolled: 5-line block ×5, first 2 shown]
	v_add_f64_e32 v[52:53], v[140:141], v[52:53]
	v_fma_f64 v[140:141], v[203:204], s[10:11], -v[213:214]
	v_add_f64_e32 v[142:143], v[140:141], v[20:21]
	v_fma_f64 v[20:21], v[199:200], s[10:11], v[215:216]
	s_delay_alu instid0(VALU_DEP_1) | instskip(SKIP_2) | instid1(VALU_DEP_2)
	v_add_f64_e32 v[140:141], v[20:21], v[52:53]
	v_fma_f64 v[20:21], v[164:165], s[34:35], -v[146:147]
	v_fma_f64 v[52:53], v[199:200], s[10:11], -v[215:216]
	v_add_f64_e32 v[20:21], v[20:21], v[144:145]
	s_delay_alu instid0(VALU_DEP_1) | instskip(SKIP_1) | instid1(VALU_DEP_1)
	v_add_f64_e32 v[20:21], v[40:41], v[20:21]
	v_fma_f64 v[40:41], v[181:182], s[2:3], v[179:180]
	v_add_f64_e32 v[16:17], v[40:41], v[16:17]
	v_fma_f64 v[40:41], v[174:175], s[2:3], -v[187:188]
	s_delay_alu instid0(VALU_DEP_1) | instskip(SKIP_1) | instid1(VALU_DEP_1)
	v_add_f64_e32 v[20:21], v[40:41], v[20:21]
	v_fma_f64 v[40:41], v[185:186], s[18:19], v[191:192]
	v_add_f64_e32 v[16:17], v[40:41], v[16:17]
	v_fma_f64 v[40:41], v[183:184], s[18:19], -v[201:202]
	;; [unrolled: 5-line block ×4, first 2 shown]
	s_delay_alu instid0(VALU_DEP_1) | instskip(SKIP_1) | instid1(VALU_DEP_2)
	v_add_f64_e32 v[20:21], v[40:41], v[20:21]
	v_fma_f64 v[40:41], v[203:204], s[10:11], v[213:214]
	v_add_f64_e32 v[144:145], v[52:53], v[20:21]
	s_delay_alu instid0(VALU_DEP_2) | instskip(SKIP_1) | instid1(VALU_DEP_1)
	v_add_f64_e32 v[146:147], v[40:41], v[16:17]
	v_fma_f64 v[16:17], v[172:173], s[10:11], v[22:23]
	v_add_f64_e32 v[8:9], v[16:17], v[8:9]
	v_fma_f64 v[16:17], v[168:169], s[10:11], -v[34:35]
	s_delay_alu instid0(VALU_DEP_1) | instskip(SKIP_1) | instid1(VALU_DEP_1)
	v_add_f64_e32 v[14:15], v[16:17], v[14:15]
	v_fma_f64 v[16:17], v[181:182], s[18:19], v[36:37]
	v_add_f64_e32 v[8:9], v[16:17], v[8:9]
	v_fma_f64 v[16:17], v[174:175], s[18:19], -v[44:45]
	s_delay_alu instid0(VALU_DEP_1) | instskip(SKIP_1) | instid1(VALU_DEP_1)
	;; [unrolled: 5-line block ×4, first 2 shown]
	v_add_f64_e32 v[14:15], v[16:17], v[14:15]
	v_fma_f64 v[16:17], v[197:198], s[2:3], v[150:151]
	v_add_f64_e32 v[8:9], v[16:17], v[8:9]
	v_fma_f64 v[16:17], v[195:196], s[2:3], -v[221:222]
	s_delay_alu instid0(VALU_DEP_1) | instskip(SKIP_1) | instid1(VALU_DEP_2)
	v_add_f64_e32 v[14:15], v[16:17], v[14:15]
	v_fma_f64 v[16:17], v[203:204], s[26:27], v[223:224]
	v_add_f64_e32 v[148:149], v[10:11], v[14:15]
	s_delay_alu instid0(VALU_DEP_2)
	v_add_f64_e32 v[150:151], v[16:17], v[8:9]
	v_fma_f64 v[8:9], v[166:167], s[24:25], v[12:13]
	v_fma_f64 v[10:11], v[164:165], s[24:25], -v[32:33]
	v_fma_f64 v[12:13], v[172:173], s[2:3], v[50:51]
	v_fma_f64 v[14:15], v[168:169], s[2:3], -v[56:57]
	v_fma_f64 v[16:17], v[181:182], s[30:31], v[154:155]
	v_add_f64_e32 v[8:9], v[8:9], v[38:39]
	v_add_f64_e32 v[10:11], v[10:11], v[152:153]
	s_delay_alu instid0(VALU_DEP_2) | instskip(SKIP_1) | instid1(VALU_DEP_3)
	v_add_f64_e32 v[8:9], v[12:13], v[8:9]
	v_fma_f64 v[12:13], v[174:175], s[30:31], -v[156:157]
	v_add_f64_e32 v[10:11], v[14:15], v[10:11]
	v_fma_f64 v[14:15], v[185:186], s[20:21], v[158:159]
	s_delay_alu instid0(VALU_DEP_4) | instskip(SKIP_1) | instid1(VALU_DEP_4)
	v_add_f64_e32 v[8:9], v[16:17], v[8:9]
	v_fma_f64 v[16:17], v[183:184], s[20:21], -v[160:161]
	v_add_f64_e32 v[10:11], v[12:13], v[10:11]
	v_fma_f64 v[12:13], v[193:194], s[10:11], v[162:163]
	s_delay_alu instid0(VALU_DEP_4) | instskip(SKIP_1) | instid1(VALU_DEP_4)
	;; [unrolled: 5-line block ×4, first 2 shown]
	v_add_f64_e32 v[8:9], v[16:17], v[8:9]
	v_fma_f64 v[16:17], v[199:200], s[18:19], -v[18:19]
	v_add_f64_e32 v[10:11], v[12:13], v[10:11]
	s_delay_alu instid0(VALU_DEP_3) | instskip(SKIP_4) | instid1(VALU_DEP_1)
	v_add_f64_e32 v[154:155], v[14:15], v[8:9]
	scratch_load_b32 v8, off, off           ; 4-byte Folded Reload
	v_add_f64_e32 v[152:153], v[16:17], v[10:11]
	s_wait_loadcnt 0x0
	v_mul_lo_u16 v8, v8, 17
	v_and_b32_e32 v8, 0xffff, v8
	s_delay_alu instid0(VALU_DEP_1)
	v_lshlrev_b32_e32 v8, 4, v8
	ds_store_b128 v8, v[0:3]
	ds_store_b128 v8, v[108:111] offset:16
	ds_store_b128 v8, v[136:139] offset:32
	;; [unrolled: 1-line block ×12, first 2 shown]
	scratch_load_b128 v[0:3], off, off offset:60 ; 16-byte Folded Reload
	s_wait_loadcnt 0x0
	ds_store_b128 v8, v[0:3] offset:208
	scratch_load_b128 v[0:3], off, off offset:44 ; 16-byte Folded Reload
	s_wait_loadcnt 0x0
	ds_store_b128 v8, v[0:3] offset:224
	ds_store_b128 v8, v[148:151] offset:240
	;; [unrolled: 1-line block ×3, first 2 shown]
.LBB0_17:
	s_wait_alu 0xfffe
	s_or_b32 exec_lo, exec_lo, s1
	global_wb scope:SCOPE_SE
	s_wait_dscnt 0x0
	s_barrier_signal -1
	s_barrier_wait -1
	global_inv scope:SCOPE_SE
	ds_load_b128 v[0:3], v255 offset:816
	ds_load_b128 v[108:111], v255
	scratch_load_b128 v[6:9], off, off offset:76 th:TH_LOAD_LU ; 16-byte Folded Reload
	s_mov_b32 s34, 0x42a4c3d2
	s_mov_b32 s35, 0xbfea55e2
	;; [unrolled: 1-line block ×30, first 2 shown]
	s_wait_alu 0xfffe
	s_mov_b32 s42, s46
	s_mov_b32 s40, s34
	;; [unrolled: 1-line block ×6, first 2 shown]
	s_wait_loadcnt_dscnt 0x1
	v_mul_f64_e32 v[4:5], v[8:9], v[2:3]
	s_delay_alu instid0(VALU_DEP_1) | instskip(SKIP_1) | instid1(VALU_DEP_1)
	v_fma_f64 v[50:51], v[6:7], v[0:1], v[4:5]
	v_mul_f64_e32 v[0:1], v[8:9], v[0:1]
	v_fma_f64 v[106:107], v[6:7], v[2:3], -v[0:1]
	ds_load_b128 v[0:3], v255 offset:1632
	ds_load_b128 v[112:115], v255 offset:2448
	scratch_load_b128 v[6:9], off, off offset:124 th:TH_LOAD_LU ; 16-byte Folded Reload
	s_wait_loadcnt_dscnt 0x1
	v_mul_f64_e32 v[4:5], v[8:9], v[0:1]
	s_delay_alu instid0(VALU_DEP_1) | instskip(SKIP_1) | instid1(VALU_DEP_1)
	v_fma_f64 v[104:105], v[6:7], v[2:3], -v[4:5]
	v_mul_f64_e32 v[2:3], v[8:9], v[2:3]
	v_fma_f64 v[20:21], v[6:7], v[0:1], v[2:3]
	scratch_load_b128 v[6:9], off, off offset:92 th:TH_LOAD_LU ; 16-byte Folded Reload
	ds_load_b128 v[0:3], v255 offset:9792
	s_wait_loadcnt_dscnt 0x0
	v_mul_f64_e32 v[4:5], v[8:9], v[0:1]
	s_delay_alu instid0(VALU_DEP_1) | instskip(SKIP_1) | instid1(VALU_DEP_1)
	v_fma_f64 v[4:5], v[6:7], v[2:3], -v[4:5]
	v_mul_f64_e32 v[2:3], v[8:9], v[2:3]
	v_fma_f64 v[6:7], v[6:7], v[0:1], v[2:3]
	ds_load_b128 v[0:3], v255 offset:8976
	ds_load_b128 v[116:119], v255 offset:8160
	s_clause 0x1
	scratch_load_b128 v[10:13], off, off offset:108 th:TH_LOAD_LU
	scratch_load_b128 v[22:25], off, off offset:220 th:TH_LOAD_LU
	v_add_f64_e64 v[136:137], v[50:51], -v[6:7]
	s_wait_loadcnt_dscnt 0x101
	v_mul_f64_e32 v[8:9], v[12:13], v[0:1]
	s_delay_alu instid0(VALU_DEP_1)
	v_fma_f64 v[8:9], v[10:11], v[2:3], -v[8:9]
	v_mul_f64_e32 v[2:3], v[12:13], v[2:3]
	scratch_load_b128 v[12:15], off, off offset:188 th:TH_LOAD_LU ; 16-byte Folded Reload
	v_add_f64_e64 v[168:169], v[104:105], -v[8:9]
	v_fma_f64 v[10:11], v[10:11], v[0:1], v[2:3]
	v_add_f64_e32 v[170:171], v[104:105], v[8:9]
	s_delay_alu instid0(VALU_DEP_3) | instskip(SKIP_1) | instid1(VALU_DEP_3)
	v_mul_f64_e32 v[217:218], s[24:25], v[168:169]
	v_mul_f64_e32 v[235:236], s[28:29], v[168:169]
	;; [unrolled: 1-line block ×5, first 2 shown]
	s_wait_loadcnt 0x0
	v_mul_f64_e32 v[0:1], v[14:15], v[114:115]
	s_delay_alu instid0(VALU_DEP_1) | instskip(SKIP_1) | instid1(VALU_DEP_1)
	v_fma_f64 v[16:17], v[12:13], v[112:113], v[0:1]
	v_mul_f64_e32 v[0:1], v[14:15], v[112:113]
	v_fma_f64 v[18:19], v[12:13], v[114:115], -v[0:1]
	s_wait_dscnt 0x0
	v_mul_f64_e32 v[0:1], v[24:25], v[118:119]
	s_delay_alu instid0(VALU_DEP_1) | instskip(SKIP_1) | instid1(VALU_DEP_2)
	v_fma_f64 v[12:13], v[22:23], v[116:117], v[0:1]
	v_mul_f64_e32 v[0:1], v[24:25], v[116:117]
	v_add_f64_e64 v[177:178], v[16:17], -v[12:13]
	s_delay_alu instid0(VALU_DEP_2)
	v_fma_f64 v[14:15], v[22:23], v[118:119], -v[0:1]
	ds_load_b128 v[0:3], v255 offset:3264
	ds_load_b128 v[52:55], v255 offset:4080
	scratch_load_b128 v[24:27], off, off offset:140 th:TH_LOAD_LU ; 16-byte Folded Reload
	v_add_f64_e64 v[172:173], v[18:19], -v[14:15]
	v_add_f64_e32 v[174:175], v[18:19], v[14:15]
	s_delay_alu instid0(VALU_DEP_2) | instskip(NEXT) | instid1(VALU_DEP_2)
	v_mul_f64_e32 v[219:220], s[28:29], v[172:173]
	v_mul_f64_e32 v[179:180], s[18:19], v[174:175]
	;; [unrolled: 1-line block ×3, first 2 shown]
	s_wait_alu 0xfffe
	v_mul_f64_e32 v[239:240], s[30:31], v[172:173]
	v_mul_f64_e32 v[241:242], s[14:15], v[174:175]
	;; [unrolled: 1-line block ×4, first 2 shown]
	s_delay_alu instid0(VALU_DEP_1) | instskip(SKIP_2) | instid1(VALU_DEP_1)
	v_fma_f64 v[78:79], v[177:178], s[40:41], v[76:77]
	s_wait_loadcnt_dscnt 0x1
	v_mul_f64_e32 v[22:23], v[26:27], v[2:3]
	v_fma_f64 v[44:45], v[24:25], v[0:1], v[22:23]
	v_mul_f64_e32 v[0:1], v[26:27], v[0:1]
	s_delay_alu instid0(VALU_DEP_1)
	v_fma_f64 v[34:35], v[24:25], v[2:3], -v[0:1]
	ds_load_b128 v[0:3], v255 offset:7344
	ds_load_b128 v[112:115], v255 offset:6528
	scratch_load_b128 v[24:27], off, off offset:156 th:TH_LOAD_LU ; 16-byte Folded Reload
	s_wait_loadcnt_dscnt 0x1
	v_mul_f64_e32 v[22:23], v[26:27], v[2:3]
	s_delay_alu instid0(VALU_DEP_1) | instskip(SKIP_1) | instid1(VALU_DEP_2)
	v_fma_f64 v[22:23], v[24:25], v[0:1], v[22:23]
	v_mul_f64_e32 v[0:1], v[26:27], v[0:1]
	v_add_f64_e32 v[183:184], v[44:45], v[22:23]
	s_delay_alu instid0(VALU_DEP_2) | instskip(SKIP_4) | instid1(VALU_DEP_2)
	v_fma_f64 v[32:33], v[24:25], v[2:3], -v[0:1]
	scratch_load_b128 v[24:27], off, off offset:236 th:TH_LOAD_LU ; 16-byte Folded Reload
	v_add_f64_e64 v[189:190], v[44:45], -v[22:23]
	v_add_f64_e64 v[181:182], v[34:35], -v[32:33]
	v_add_f64_e32 v[187:188], v[34:35], v[32:33]
	v_mul_f64_e32 v[185:186], s[24:25], v[181:182]
	s_delay_alu instid0(VALU_DEP_2)
	v_mul_f64_e32 v[191:192], s[14:15], v[187:188]
	v_mul_f64_e32 v[223:224], s[26:27], v[181:182]
	;; [unrolled: 1-line block ×7, first 2 shown]
	s_delay_alu instid0(VALU_DEP_2) | instskip(NEXT) | instid1(VALU_DEP_2)
	v_fma_f64 v[102:103], v[183:184], s[18:19], v[100:101]
	v_fma_f64 v[82:83], v[189:190], s[28:29], v[80:81]
	s_wait_loadcnt 0x0
	v_mul_f64_e32 v[0:1], v[26:27], v[54:55]
	s_delay_alu instid0(VALU_DEP_1) | instskip(SKIP_1) | instid1(VALU_DEP_1)
	v_fma_f64 v[46:47], v[24:25], v[52:53], v[0:1]
	v_mul_f64_e32 v[0:1], v[26:27], v[52:53]
	v_fma_f64 v[52:53], v[24:25], v[54:55], -v[0:1]
	s_wait_dscnt 0x0
	v_mul_f64_e32 v[0:1], v[62:63], v[114:115]
	s_delay_alu instid0(VALU_DEP_1) | instskip(SKIP_3) | instid1(VALU_DEP_4)
	v_fma_f64 v[36:37], v[60:61], v[112:113], v[0:1]
	v_mul_f64_e32 v[0:1], v[62:63], v[112:113]
	v_add_f64_e32 v[112:113], v[50:51], v[6:7]
	v_add_f64_e32 v[50:51], v[108:109], v[50:51]
	;; [unrolled: 1-line block ×3, first 2 shown]
	s_delay_alu instid0(VALU_DEP_4)
	v_fma_f64 v[38:39], v[60:61], v[114:115], -v[0:1]
	ds_load_b128 v[0:3], v255 offset:4896
	ds_load_b128 v[56:59], v255 offset:5712
	scratch_load_b128 v[24:27], off, off offset:172 th:TH_LOAD_LU ; 16-byte Folded Reload
	v_add_f64_e64 v[201:202], v[46:47], -v[36:37]
	v_add_f64_e64 v[193:194], v[52:53], -v[38:39]
	v_add_f64_e32 v[199:200], v[52:53], v[38:39]
	s_delay_alu instid0(VALU_DEP_2) | instskip(NEXT) | instid1(VALU_DEP_2)
	v_mul_f64_e32 v[197:198], s[38:39], v[193:194]
	v_mul_f64_e32 v[203:204], s[10:11], v[199:200]
	;; [unrolled: 1-line block ×8, first 2 shown]
	s_delay_alu instid0(VALU_DEP_2) | instskip(NEXT) | instid1(VALU_DEP_2)
	v_fma_f64 v[66:67], v[195:196], s[2:3], v[64:65]
	v_fma_f64 v[86:87], v[201:202], s[46:47], v[84:85]
	s_wait_loadcnt_dscnt 0x1
	v_mul_f64_e32 v[40:41], v[26:27], v[2:3]
	s_delay_alu instid0(VALU_DEP_1) | instskip(SKIP_1) | instid1(VALU_DEP_1)
	v_fma_f64 v[54:55], v[24:25], v[0:1], v[40:41]
	v_mul_f64_e32 v[0:1], v[26:27], v[0:1]
	v_fma_f64 v[40:41], v[24:25], v[2:3], -v[0:1]
	scratch_load_b128 v[24:27], off, off offset:204 th:TH_LOAD_LU ; 16-byte Folded Reload
	global_wb scope:SCOPE_SE
	s_wait_loadcnt_dscnt 0x0
	s_barrier_signal -1
	s_barrier_wait -1
	global_inv scope:SCOPE_SE
	v_mul_f64_e32 v[0:1], v[26:27], v[58:59]
	s_delay_alu instid0(VALU_DEP_1) | instskip(SKIP_1) | instid1(VALU_DEP_2)
	v_fma_f64 v[42:43], v[24:25], v[56:57], v[0:1]
	v_mul_f64_e32 v[0:1], v[26:27], v[56:57]
	v_add_f64_e32 v[207:208], v[54:55], v[42:43]
	s_delay_alu instid0(VALU_DEP_2) | instskip(SKIP_3) | instid1(VALU_DEP_4)
	v_fma_f64 v[48:49], v[24:25], v[58:59], -v[0:1]
	v_add_f64_e64 v[0:1], v[106:107], -v[4:5]
	v_add_f64_e64 v[213:214], v[54:55], -v[42:43]
	v_mul_f64_e32 v[24:25], s[26:27], v[168:169]
	v_add_f64_e64 v[205:206], v[40:41], -v[48:49]
	s_delay_alu instid0(VALU_DEP_4)
	v_mul_f64_e32 v[56:57], s[34:35], v[0:1]
	v_mul_f64_e32 v[2:3], s[46:47], v[0:1]
	;; [unrolled: 1-line block ×6, first 2 shown]
	v_add_f64_e32 v[211:212], v[40:41], v[48:49]
	v_mul_f64_e32 v[209:210], s[28:29], v[205:206]
	v_fma_f64 v[116:117], v[112:113], s[16:17], v[56:57]
	v_fma_f64 v[118:119], v[112:113], s[16:17], -v[56:57]
	v_add_f64_e32 v[56:57], v[106:107], v[4:5]
	v_fma_f64 v[114:115], v[112:113], s[20:21], v[2:3]
	v_fma_f64 v[2:3], v[112:113], s[20:21], -v[2:3]
	v_fma_f64 v[120:121], v[112:113], s[18:19], v[58:59]
	v_fma_f64 v[122:123], v[112:113], s[18:19], -v[58:59]
	;; [unrolled: 2-line block ×5, first 2 shown]
	v_mul_f64_e32 v[215:216], s[2:3], v[211:212]
	v_mul_f64_e32 v[231:232], s[42:43], v[205:206]
	;; [unrolled: 1-line block ×6, first 2 shown]
	v_add_f64_e32 v[156:157], v[108:109], v[116:117]
	v_add_f64_e32 v[116:117], v[16:17], v[12:13]
	v_mul_f64_e32 v[58:59], s[20:21], v[56:57]
	v_mul_f64_e32 v[60:61], s[16:17], v[56:57]
	;; [unrolled: 1-line block ×6, first 2 shown]
	v_add_f64_e32 v[2:3], v[108:109], v[2:3]
	v_add_f64_e32 v[122:123], v[108:109], v[122:123]
	;; [unrolled: 1-line block ×6, first 2 shown]
	v_fma_f64 v[70:71], v[207:208], s[16:17], v[68:69]
	v_fma_f64 v[132:133], v[116:117], s[2:3], v[219:220]
	;; [unrolled: 1-line block ×14, first 2 shown]
	v_add_f64_e32 v[56:57], v[110:111], v[106:107]
	v_add_f64_e32 v[58:59], v[108:109], v[114:115]
	;; [unrolled: 1-line block ×3, first 2 shown]
	v_mul_f64_e32 v[114:115], s[16:17], v[170:171]
	v_mul_f64_e32 v[118:119], s[44:45], v[172:173]
	v_fma_f64 v[98:99], v[116:117], s[20:21], v[96:97]
	v_add_f64_e32 v[138:139], v[110:111], v[138:139]
	v_add_f64_e32 v[60:61], v[110:111], v[140:141]
	;; [unrolled: 1-line block ×16, first 2 shown]
	v_mul_f64_e32 v[110:111], s[34:35], v[168:169]
	v_add_f64_e64 v[112:113], v[20:21], -v[10:11]
	v_fma_f64 v[128:129], v[116:117], s[18:19], -v[118:119]
	v_fma_f64 v[136:137], v[116:117], s[14:15], v[239:240]
	v_add_f64_e32 v[20:21], v[50:51], v[20:21]
	v_fma_f64 v[26:27], v[108:109], s[10:11], v[24:25]
	v_fma_f64 v[0:1], v[108:109], s[16:17], -v[110:111]
	v_fma_f64 v[134:135], v[112:113], s[22:23], v[237:238]
	v_fma_f64 v[30:31], v[112:113], s[38:39], v[28:29]
	;; [unrolled: 1-line block ×4, first 2 shown]
	v_fma_f64 v[24:25], v[108:109], s[10:11], -v[24:25]
	v_fma_f64 v[28:29], v[112:113], s[26:27], v[28:29]
	v_add_f64_e32 v[16:17], v[20:21], v[16:17]
	v_add_f64_e32 v[26:27], v[26:27], v[146:147]
	v_add_f64_e32 v[0:1], v[0:1], v[2:3]
	v_fma_f64 v[2:3], v[112:113], s[34:35], v[114:115]
	v_add_f64_e32 v[134:135], v[134:135], v[144:145]
	v_add_f64_e32 v[30:31], v[30:31], v[148:149]
	;; [unrolled: 1-line block ×3, first 2 shown]
	v_mul_f64_e32 v[152:153], s[34:35], v[172:173]
	v_mul_f64_e32 v[148:149], s[20:21], v[170:171]
	v_add_f64_e32 v[72:73], v[72:73], v[160:161]
	v_add_f64_e32 v[24:25], v[24:25], v[126:127]
	;; [unrolled: 1-line block ×7, first 2 shown]
	v_fma_f64 v[128:129], v[177:178], s[44:45], v[179:180]
	v_mul_f64_e32 v[98:99], s[20:21], v[174:175]
	v_add_f64_e32 v[74:75], v[78:79], v[74:75]
	v_mul_f64_e32 v[78:79], s[22:23], v[181:182]
	v_fma_f64 v[146:147], v[112:113], s[46:47], v[148:149]
	v_fma_f64 v[148:149], v[112:113], s[42:43], v[148:149]
	v_add_f64_e32 v[16:17], v[16:17], v[46:47]
	v_add_f64_e32 v[26:27], v[102:103], v[26:27]
	v_mul_f64_e32 v[102:103], s[18:19], v[187:188]
	v_add_f64_e32 v[2:3], v[128:129], v[2:3]
	v_fma_f64 v[128:129], v[183:184], s[14:15], -v[185:186]
	v_add_f64_e32 v[74:75], v[82:83], v[74:75]
	v_mul_f64_e32 v[82:83], s[42:43], v[193:194]
	v_add_f64_e32 v[146:147], v[146:147], v[154:155]
	v_add_f64_e32 v[148:149], v[148:149], v[166:167]
	;; [unrolled: 1-line block ×4, first 2 shown]
	v_mul_f64_e32 v[66:67], s[2:3], v[199:200]
	v_add_f64_e32 v[0:1], v[128:129], v[0:1]
	v_fma_f64 v[128:129], v[189:190], s[24:25], v[191:192]
	v_add_f64_e32 v[74:75], v[86:87], v[74:75]
	v_mul_f64_e32 v[86:87], s[24:25], v[205:206]
	v_add_f64_e32 v[16:17], v[16:17], v[42:43]
	s_delay_alu instid0(VALU_DEP_4) | instskip(SKIP_1) | instid1(VALU_DEP_3)
	v_add_f64_e32 v[2:3], v[128:129], v[2:3]
	v_fma_f64 v[128:129], v[195:196], s[10:11], -v[197:198]
	v_add_f64_e32 v[16:17], v[16:17], v[36:37]
	s_delay_alu instid0(VALU_DEP_2) | instskip(SKIP_1) | instid1(VALU_DEP_3)
	v_add_f64_e32 v[0:1], v[128:129], v[0:1]
	v_fma_f64 v[128:129], v[201:202], s[38:39], v[203:204]
	v_add_f64_e32 v[16:17], v[16:17], v[22:23]
	s_delay_alu instid0(VALU_DEP_2) | instskip(SKIP_1) | instid1(VALU_DEP_3)
	v_add_f64_e32 v[2:3], v[128:129], v[2:3]
	v_fma_f64 v[128:129], v[207:208], s[2:3], -v[209:210]
	v_add_f64_e32 v[12:13], v[16:17], v[12:13]
	s_delay_alu instid0(VALU_DEP_2) | instskip(SKIP_1) | instid1(VALU_DEP_3)
	v_add_f64_e32 v[0:1], v[128:129], v[0:1]
	v_fma_f64 v[128:129], v[213:214], s[28:29], v[215:216]
	v_add_f64_e32 v[10:11], v[12:13], v[10:11]
	s_delay_alu instid0(VALU_DEP_2) | instskip(SKIP_1) | instid1(VALU_DEP_3)
	v_add_f64_e32 v[2:3], v[128:129], v[2:3]
	v_fma_f64 v[128:129], v[108:109], s[14:15], v[217:218]
	v_add_f64_e32 v[6:7], v[10:11], v[6:7]
	s_delay_alu instid0(VALU_DEP_2) | instskip(SKIP_1) | instid1(VALU_DEP_2)
	v_add_f64_e32 v[128:129], v[128:129], v[156:157]
	v_mul_f64_e32 v[156:157], s[14:15], v[170:171]
	v_add_f64_e32 v[128:129], v[132:133], v[128:129]
	s_delay_alu instid0(VALU_DEP_2) | instskip(SKIP_1) | instid1(VALU_DEP_2)
	v_fma_f64 v[130:131], v[112:113], s[30:31], v[156:157]
	v_fma_f64 v[132:133], v[177:178], s[22:23], v[221:222]
	v_add_f64_e32 v[130:131], v[130:131], v[142:143]
	s_delay_alu instid0(VALU_DEP_1) | instskip(SKIP_1) | instid1(VALU_DEP_1)
	v_add_f64_e32 v[130:131], v[132:133], v[130:131]
	v_fma_f64 v[132:133], v[183:184], s[10:11], v[223:224]
	v_add_f64_e32 v[128:129], v[132:133], v[128:129]
	v_fma_f64 v[132:133], v[189:190], s[38:39], v[225:226]
	s_delay_alu instid0(VALU_DEP_1) | instskip(SKIP_1) | instid1(VALU_DEP_1)
	v_add_f64_e32 v[130:131], v[132:133], v[130:131]
	v_fma_f64 v[132:133], v[195:196], s[18:19], v[227:228]
	v_add_f64_e32 v[128:129], v[132:133], v[128:129]
	v_fma_f64 v[132:133], v[201:202], s[44:45], v[229:230]
	;; [unrolled: 5-line block ×4, first 2 shown]
	s_delay_alu instid0(VALU_DEP_2) | instskip(SKIP_1) | instid1(VALU_DEP_1)
	v_add_f64_e32 v[132:133], v[136:137], v[132:133]
	v_fma_f64 v[136:137], v[177:178], s[24:25], v[241:242]
	v_add_f64_e32 v[134:135], v[136:137], v[134:135]
	v_fma_f64 v[136:137], v[183:184], s[20:21], v[243:244]
	s_delay_alu instid0(VALU_DEP_1) | instskip(SKIP_1) | instid1(VALU_DEP_1)
	v_add_f64_e32 v[132:133], v[136:137], v[132:133]
	v_fma_f64 v[136:137], v[189:190], s[46:47], v[245:246]
	v_add_f64_e32 v[134:135], v[136:137], v[134:135]
	v_fma_f64 v[136:137], v[195:196], s[16:17], v[247:248]
	s_delay_alu instid0(VALU_DEP_1) | instskip(SKIP_1) | instid1(VALU_DEP_1)
	;; [unrolled: 5-line block ×4, first 2 shown]
	v_add_f64_e32 v[30:31], v[136:137], v[30:31]
	v_fma_f64 v[136:137], v[189:190], s[36:37], v[102:103]
	v_add_f64_e32 v[30:31], v[136:137], v[30:31]
	v_fma_f64 v[136:137], v[201:202], s[28:29], v[66:67]
	s_delay_alu instid0(VALU_DEP_1) | instskip(SKIP_2) | instid1(VALU_DEP_1)
	v_add_f64_e32 v[30:31], v[136:137], v[30:31]
	v_add_f64_e32 v[136:137], v[70:71], v[26:27]
	v_mul_f64_e32 v[26:27], s[16:17], v[211:212]
	v_fma_f64 v[70:71], v[213:214], s[34:35], v[26:27]
	v_fma_f64 v[26:27], v[213:214], s[40:41], v[26:27]
	s_delay_alu instid0(VALU_DEP_2) | instskip(SKIP_1) | instid1(VALU_DEP_1)
	v_add_f64_e32 v[138:139], v[70:71], v[30:31]
	v_mul_f64_e32 v[30:31], s[36:37], v[168:169]
	v_fma_f64 v[70:71], v[108:109], s[18:19], v[30:31]
	v_fma_f64 v[30:31], v[108:109], s[18:19], -v[30:31]
	s_delay_alu instid0(VALU_DEP_2) | instskip(SKIP_1) | instid1(VALU_DEP_3)
	v_add_f64_e32 v[70:71], v[70:71], v[150:151]
	v_mul_f64_e32 v[150:151], s[38:39], v[172:173]
	v_add_f64_e32 v[30:31], v[30:31], v[158:159]
	s_delay_alu instid0(VALU_DEP_3) | instskip(SKIP_1) | instid1(VALU_DEP_4)
	v_add_f64_e32 v[70:71], v[140:141], v[70:71]
	v_fma_f64 v[140:141], v[183:184], s[2:3], v[78:79]
	v_fma_f64 v[154:155], v[116:117], s[10:11], v[150:151]
	v_fma_f64 v[150:151], v[116:117], s[10:11], -v[150:151]
	s_delay_alu instid0(VALU_DEP_3) | instskip(SKIP_1) | instid1(VALU_DEP_1)
	v_add_f64_e32 v[70:71], v[140:141], v[70:71]
	v_fma_f64 v[140:141], v[195:196], s[20:21], v[82:83]
	v_add_f64_e32 v[70:71], v[140:141], v[70:71]
	v_fma_f64 v[140:141], v[207:208], s[14:15], v[86:87]
	s_delay_alu instid0(VALU_DEP_1) | instskip(SKIP_1) | instid1(VALU_DEP_1)
	v_add_f64_e32 v[140:141], v[140:141], v[70:71]
	v_mul_f64_e32 v[70:71], s[14:15], v[211:212]
	v_fma_f64 v[142:143], v[213:214], s[30:31], v[70:71]
	v_fma_f64 v[70:71], v[213:214], s[24:25], v[70:71]
	s_delay_alu instid0(VALU_DEP_2) | instskip(SKIP_1) | instid1(VALU_DEP_1)
	v_add_f64_e32 v[142:143], v[142:143], v[74:75]
	v_mul_f64_e32 v[74:75], s[42:43], v[168:169]
	v_fma_f64 v[144:145], v[108:109], s[20:21], v[74:75]
	v_fma_f64 v[74:75], v[108:109], s[20:21], -v[74:75]
	s_delay_alu instid0(VALU_DEP_2) | instskip(NEXT) | instid1(VALU_DEP_2)
	v_add_f64_e32 v[144:145], v[144:145], v[162:163]
	v_add_f64_e32 v[74:75], v[74:75], v[164:165]
	s_delay_alu instid0(VALU_DEP_2) | instskip(SKIP_1) | instid1(VALU_DEP_3)
	v_add_f64_e32 v[144:145], v[154:155], v[144:145]
	v_mul_f64_e32 v[154:155], s[10:11], v[174:175]
	v_add_f64_e32 v[74:75], v[150:151], v[74:75]
	s_delay_alu instid0(VALU_DEP_2) | instskip(SKIP_1) | instid1(VALU_DEP_2)
	v_fma_f64 v[162:163], v[177:178], s[26:27], v[154:155]
	v_fma_f64 v[150:151], v[177:178], s[38:39], v[154:155]
	v_add_f64_e32 v[146:147], v[162:163], v[146:147]
	v_mul_f64_e32 v[162:163], s[40:41], v[181:182]
	s_delay_alu instid0(VALU_DEP_3) | instskip(SKIP_1) | instid1(VALU_DEP_3)
	v_add_f64_e32 v[148:149], v[150:151], v[148:149]
	v_mul_f64_e32 v[181:182], s[18:19], v[211:212]
	v_fma_f64 v[168:169], v[183:184], s[16:17], v[162:163]
	v_fma_f64 v[150:151], v[183:184], s[16:17], -v[162:163]
	s_delay_alu instid0(VALU_DEP_3) | instskip(NEXT) | instid1(VALU_DEP_3)
	v_fma_f64 v[154:155], v[213:214], s[36:37], v[181:182]
	v_add_f64_e32 v[144:145], v[168:169], v[144:145]
	v_mul_f64_e32 v[168:169], s[16:17], v[187:188]
	s_delay_alu instid0(VALU_DEP_4) | instskip(NEXT) | instid1(VALU_DEP_2)
	v_add_f64_e32 v[74:75], v[150:151], v[74:75]
	v_fma_f64 v[170:171], v[189:190], s[34:35], v[168:169]
	v_fma_f64 v[150:151], v[189:190], s[40:41], v[168:169]
	s_delay_alu instid0(VALU_DEP_2) | instskip(SKIP_1) | instid1(VALU_DEP_3)
	v_add_f64_e32 v[146:147], v[170:171], v[146:147]
	v_mul_f64_e32 v[170:171], s[24:25], v[193:194]
	v_add_f64_e32 v[148:149], v[150:151], v[148:149]
	s_delay_alu instid0(VALU_DEP_2) | instskip(SKIP_1) | instid1(VALU_DEP_2)
	v_fma_f64 v[172:173], v[195:196], s[14:15], v[170:171]
	v_fma_f64 v[150:151], v[195:196], s[14:15], -v[170:171]
	v_add_f64_e32 v[144:145], v[172:173], v[144:145]
	v_mul_f64_e32 v[172:173], s[14:15], v[199:200]
	s_delay_alu instid0(VALU_DEP_3) | instskip(NEXT) | instid1(VALU_DEP_2)
	v_add_f64_e32 v[74:75], v[150:151], v[74:75]
	v_fma_f64 v[174:175], v[201:202], s[30:31], v[172:173]
	v_fma_f64 v[150:151], v[201:202], s[24:25], v[172:173]
	s_delay_alu instid0(VALU_DEP_2) | instskip(SKIP_1) | instid1(VALU_DEP_3)
	v_add_f64_e32 v[146:147], v[174:175], v[146:147]
	v_mul_f64_e32 v[174:175], s[36:37], v[205:206]
	v_add_f64_e32 v[150:151], v[150:151], v[148:149]
	s_delay_alu instid0(VALU_DEP_2) | instskip(SKIP_1) | instid1(VALU_DEP_3)
	v_fma_f64 v[148:149], v[207:208], s[18:19], -v[174:175]
	v_fma_f64 v[187:188], v[207:208], s[18:19], v[174:175]
	v_add_f64_e32 v[150:151], v[154:155], v[150:151]
	s_delay_alu instid0(VALU_DEP_3) | instskip(SKIP_1) | instid1(VALU_DEP_4)
	v_add_f64_e32 v[148:149], v[148:149], v[74:75]
	v_fma_f64 v[74:75], v[116:117], s[16:17], -v[152:153]
	v_add_f64_e32 v[144:145], v[187:188], v[144:145]
	v_fma_f64 v[187:188], v[213:214], s[44:45], v[181:182]
	s_delay_alu instid0(VALU_DEP_3) | instskip(SKIP_1) | instid1(VALU_DEP_3)
	v_add_f64_e32 v[30:31], v[74:75], v[30:31]
	v_fma_f64 v[74:75], v[177:178], s[34:35], v[76:77]
	v_add_f64_e32 v[146:147], v[187:188], v[146:147]
	s_delay_alu instid0(VALU_DEP_2) | instskip(SKIP_1) | instid1(VALU_DEP_1)
	v_add_f64_e32 v[72:73], v[74:75], v[72:73]
	v_fma_f64 v[74:75], v[183:184], s[2:3], -v[78:79]
	v_add_f64_e32 v[30:31], v[74:75], v[30:31]
	v_fma_f64 v[74:75], v[189:190], s[22:23], v[80:81]
	s_delay_alu instid0(VALU_DEP_1) | instskip(SKIP_1) | instid1(VALU_DEP_1)
	v_add_f64_e32 v[72:73], v[74:75], v[72:73]
	v_fma_f64 v[74:75], v[195:196], s[20:21], -v[82:83]
	v_add_f64_e32 v[30:31], v[74:75], v[30:31]
	v_fma_f64 v[74:75], v[201:202], s[42:43], v[84:85]
	s_delay_alu instid0(VALU_DEP_1) | instskip(SKIP_1) | instid1(VALU_DEP_2)
	v_add_f64_e32 v[72:73], v[74:75], v[72:73]
	v_fma_f64 v[74:75], v[207:208], s[14:15], -v[86:87]
	v_add_f64_e32 v[154:155], v[70:71], v[72:73]
	s_delay_alu instid0(VALU_DEP_2) | instskip(SKIP_1) | instid1(VALU_DEP_1)
	v_add_f64_e32 v[152:153], v[74:75], v[30:31]
	v_fma_f64 v[30:31], v[116:117], s[20:21], -v[96:97]
	v_add_f64_e32 v[24:25], v[30:31], v[24:25]
	v_fma_f64 v[30:31], v[177:178], s[42:43], v[98:99]
	s_delay_alu instid0(VALU_DEP_1) | instskip(SKIP_1) | instid1(VALU_DEP_1)
	v_add_f64_e32 v[28:29], v[30:31], v[28:29]
	v_fma_f64 v[30:31], v[183:184], s[18:19], -v[100:101]
	v_add_f64_e32 v[24:25], v[30:31], v[24:25]
	v_fma_f64 v[30:31], v[189:190], s[44:45], v[102:103]
	s_delay_alu instid0(VALU_DEP_1) | instskip(SKIP_1) | instid1(VALU_DEP_1)
	v_add_f64_e32 v[28:29], v[30:31], v[28:29]
	v_fma_f64 v[30:31], v[195:196], s[2:3], -v[64:65]
	v_add_f64_e32 v[24:25], v[30:31], v[24:25]
	v_fma_f64 v[30:31], v[201:202], s[22:23], v[66:67]
	s_delay_alu instid0(VALU_DEP_1) | instskip(SKIP_1) | instid1(VALU_DEP_2)
	v_add_f64_e32 v[28:29], v[30:31], v[28:29]
	v_fma_f64 v[30:31], v[207:208], s[16:17], -v[68:69]
	v_add_f64_e32 v[126:127], v[26:27], v[28:29]
	s_delay_alu instid0(VALU_DEP_2) | instskip(SKIP_4) | instid1(VALU_DEP_4)
	v_add_f64_e32 v[124:125], v[30:31], v[24:25]
	v_fma_f64 v[24:25], v[108:109], s[2:3], -v[235:236]
	v_fma_f64 v[26:27], v[112:113], s[28:29], v[237:238]
	v_fma_f64 v[28:29], v[116:117], s[14:15], -v[239:240]
	v_fma_f64 v[30:31], v[213:214], s[38:39], v[253:254]
	v_add_f64_e32 v[24:25], v[24:25], v[122:123]
	s_delay_alu instid0(VALU_DEP_4) | instskip(NEXT) | instid1(VALU_DEP_2)
	v_add_f64_e32 v[26:27], v[26:27], v[120:121]
	v_add_f64_e32 v[24:25], v[28:29], v[24:25]
	v_fma_f64 v[28:29], v[177:178], s[30:31], v[241:242]
	s_delay_alu instid0(VALU_DEP_1) | instskip(SKIP_1) | instid1(VALU_DEP_1)
	v_add_f64_e32 v[26:27], v[28:29], v[26:27]
	v_fma_f64 v[28:29], v[183:184], s[20:21], -v[243:244]
	v_add_f64_e32 v[24:25], v[28:29], v[24:25]
	v_fma_f64 v[28:29], v[189:190], s[42:43], v[245:246]
	s_delay_alu instid0(VALU_DEP_1) | instskip(SKIP_1) | instid1(VALU_DEP_1)
	v_add_f64_e32 v[26:27], v[28:29], v[26:27]
	v_fma_f64 v[28:29], v[195:196], s[16:17], -v[247:248]
	v_add_f64_e32 v[24:25], v[28:29], v[24:25]
	v_fma_f64 v[28:29], v[201:202], s[34:35], v[249:250]
	s_delay_alu instid0(VALU_DEP_1) | instskip(SKIP_1) | instid1(VALU_DEP_2)
	v_add_f64_e32 v[26:27], v[28:29], v[26:27]
	v_fma_f64 v[28:29], v[207:208], s[10:11], -v[251:252]
	v_add_f64_e32 v[122:123], v[30:31], v[26:27]
	s_delay_alu instid0(VALU_DEP_2) | instskip(SKIP_4) | instid1(VALU_DEP_4)
	v_add_f64_e32 v[120:121], v[28:29], v[24:25]
	v_fma_f64 v[24:25], v[108:109], s[14:15], -v[217:218]
	v_fma_f64 v[26:27], v[112:113], s[24:25], v[156:157]
	v_fma_f64 v[28:29], v[116:117], s[2:3], -v[219:220]
	v_fma_f64 v[30:31], v[213:214], s[42:43], v[233:234]
	v_add_f64_e32 v[24:25], v[24:25], v[106:107]
	s_delay_alu instid0(VALU_DEP_4) | instskip(NEXT) | instid1(VALU_DEP_2)
	v_add_f64_e32 v[26:27], v[26:27], v[62:63]
	v_add_f64_e32 v[24:25], v[28:29], v[24:25]
	v_fma_f64 v[28:29], v[177:178], s[28:29], v[221:222]
	s_delay_alu instid0(VALU_DEP_1) | instskip(SKIP_1) | instid1(VALU_DEP_1)
	v_add_f64_e32 v[26:27], v[28:29], v[26:27]
	v_fma_f64 v[28:29], v[183:184], s[10:11], -v[223:224]
	v_add_f64_e32 v[24:25], v[28:29], v[24:25]
	v_fma_f64 v[28:29], v[189:190], s[26:27], v[225:226]
	s_delay_alu instid0(VALU_DEP_1) | instskip(SKIP_1) | instid1(VALU_DEP_1)
	v_add_f64_e32 v[26:27], v[28:29], v[26:27]
	v_fma_f64 v[28:29], v[195:196], s[18:19], -v[227:228]
	v_add_f64_e32 v[24:25], v[28:29], v[24:25]
	v_fma_f64 v[28:29], v[201:202], s[36:37], v[229:230]
	s_delay_alu instid0(VALU_DEP_1) | instskip(SKIP_1) | instid1(VALU_DEP_2)
	v_add_f64_e32 v[26:27], v[28:29], v[26:27]
	v_fma_f64 v[28:29], v[207:208], s[20:21], -v[231:232]
	v_add_f64_e32 v[158:159], v[30:31], v[26:27]
	s_delay_alu instid0(VALU_DEP_2) | instskip(SKIP_4) | instid1(VALU_DEP_4)
	v_add_f64_e32 v[156:157], v[28:29], v[24:25]
	v_fma_f64 v[24:25], v[108:109], s[16:17], v[110:111]
	v_fma_f64 v[26:27], v[112:113], s[40:41], v[114:115]
	;; [unrolled: 1-line block ×4, first 2 shown]
	v_add_f64_e32 v[24:25], v[24:25], v[58:59]
	s_delay_alu instid0(VALU_DEP_4) | instskip(SKIP_1) | instid1(VALU_DEP_3)
	v_add_f64_e32 v[26:27], v[26:27], v[60:61]
	v_fma_f64 v[58:59], v[183:184], s[14:15], v[185:186]
	v_add_f64_e32 v[24:25], v[28:29], v[24:25]
	v_fma_f64 v[28:29], v[189:190], s[30:31], v[191:192]
	s_delay_alu instid0(VALU_DEP_4) | instskip(SKIP_1) | instid1(VALU_DEP_4)
	v_add_f64_e32 v[26:27], v[30:31], v[26:27]
	v_fma_f64 v[30:31], v[195:196], s[10:11], v[197:198]
	v_add_f64_e32 v[24:25], v[58:59], v[24:25]
	v_fma_f64 v[58:59], v[201:202], s[26:27], v[203:204]
	s_delay_alu instid0(VALU_DEP_4) | instskip(SKIP_1) | instid1(VALU_DEP_4)
	v_add_f64_e32 v[26:27], v[28:29], v[26:27]
	v_fma_f64 v[28:29], v[207:208], s[2:3], v[209:210]
	v_add_f64_e32 v[24:25], v[30:31], v[24:25]
	v_fma_f64 v[30:31], v[213:214], s[22:23], v[215:216]
	s_delay_alu instid0(VALU_DEP_4) | instskip(NEXT) | instid1(VALU_DEP_3)
	v_add_f64_e32 v[26:27], v[58:59], v[26:27]
	v_add_f64_e32 v[58:59], v[28:29], v[24:25]
	;; [unrolled: 1-line block ×3, first 2 shown]
	s_delay_alu instid0(VALU_DEP_3) | instskip(NEXT) | instid1(VALU_DEP_2)
	v_add_f64_e32 v[60:61], v[30:31], v[26:27]
	v_add_f64_e32 v[18:19], v[24:25], v[18:19]
	s_delay_alu instid0(VALU_DEP_1) | instskip(NEXT) | instid1(VALU_DEP_1)
	v_add_f64_e32 v[18:19], v[18:19], v[34:35]
	v_add_f64_e32 v[18:19], v[18:19], v[52:53]
	s_delay_alu instid0(VALU_DEP_1) | instskip(NEXT) | instid1(VALU_DEP_1)
	;; [unrolled: 3-line block ×4, first 2 shown]
	v_add_f64_e32 v[14:15], v[18:19], v[14:15]
	v_add_f64_e32 v[8:9], v[14:15], v[8:9]
	s_delay_alu instid0(VALU_DEP_1)
	v_add_f64_e32 v[8:9], v[8:9], v[4:5]
	ds_store_b128 v176, v[128:131] offset:544
	ds_store_b128 v176, v[132:135] offset:816
	;; [unrolled: 1-line block ×12, first 2 shown]
	ds_store_b128 v176, v[6:9]
	global_wb scope:SCOPE_SE
	s_wait_dscnt 0x0
	s_barrier_signal -1
	s_barrier_wait -1
	global_inv scope:SCOPE_SE
	ds_load_b128 v[12:15], v255
	ds_load_b128 v[4:7], v255 offset:816
	ds_load_b128 v[44:47], v255 offset:3536
	;; [unrolled: 1-line block ×11, first 2 shown]
	s_and_saveexec_b32 s1, s0
	s_cbranch_execz .LBB0_19
; %bb.18:
	ds_load_b128 v[0:3], v255 offset:3264
	ds_load_b128 v[24:27], v255 offset:6800
	s_wait_dscnt 0x0
	scratch_store_b128 off, v[24:27], off offset:60 ; 16-byte Folded Spill
	ds_load_b128 v[24:27], v255 offset:10336
	s_wait_dscnt 0x0
	scratch_store_b128 off, v[24:27], off offset:44 ; 16-byte Folded Spill
.LBB0_19:
	s_wait_alu 0xfffe
	s_or_b32 exec_lo, exec_lo, s1
	s_clause 0x3
	scratch_load_b128 v[100:103], off, off offset:284 th:TH_LOAD_LU
	scratch_load_b128 v[108:111], off, off offset:332 th:TH_LOAD_LU
	;; [unrolled: 1-line block ×4, first 2 shown]
	s_wait_dscnt 0x8
	v_mul_f64_e32 v[60:61], v[94:95], v[22:23]
	v_mul_f64_e32 v[62:63], v[94:95], v[20:21]
	s_wait_dscnt 0x2
	v_mul_f64_e32 v[76:77], v[90:91], v[38:39]
	v_mul_f64_e32 v[78:79], v[90:91], v[36:37]
	s_mov_b32 s2, 0xe8584caa
	s_mov_b32 s3, 0xbfebb67a
	;; [unrolled: 1-line block ×3, first 2 shown]
	s_wait_alu 0xfffe
	s_mov_b32 s10, s2
	s_delay_alu instid0(VALU_DEP_4) | instskip(NEXT) | instid1(VALU_DEP_4)
	v_fma_f64 v[20:21], v[92:93], v[20:21], v[60:61]
	v_fma_f64 v[22:23], v[92:93], v[22:23], -v[62:63]
	s_delay_alu instid0(VALU_DEP_4) | instskip(NEXT) | instid1(VALU_DEP_4)
	v_fma_f64 v[36:37], v[88:89], v[36:37], v[76:77]
	v_fma_f64 v[38:39], v[88:89], v[38:39], -v[78:79]
	s_wait_loadcnt 0x3
	v_mul_f64_e32 v[24:25], v[102:103], v[46:47]
	v_mul_f64_e32 v[26:27], v[102:103], v[44:45]
	scratch_load_b128 v[102:105], off, off offset:300 th:TH_LOAD_LU ; 16-byte Folded Reload
	s_wait_loadcnt 0x2
	v_mul_f64_e32 v[28:29], v[98:99], v[50:51]
	v_mul_f64_e32 v[30:31], v[98:99], v[48:49]
	v_mul_f64_e32 v[68:69], v[110:111], v[54:55]
	v_mul_f64_e32 v[70:71], v[110:111], v[52:53]
	s_wait_loadcnt_dscnt 0x101
	v_mul_f64_e32 v[72:73], v[86:87], v[58:59]
	v_mul_f64_e32 v[74:75], v[86:87], v[56:57]
	v_fma_f64 v[24:25], v[100:101], v[44:45], v[24:25]
	v_fma_f64 v[26:27], v[100:101], v[46:47], -v[26:27]
	v_fma_f64 v[28:29], v[96:97], v[48:49], v[28:29]
	v_fma_f64 v[30:31], v[96:97], v[50:51], -v[30:31]
	;; [unrolled: 2-line block ×4, first 2 shown]
	v_add_f64_e32 v[72:73], v[4:5], v[20:21]
	v_add_f64_e32 v[74:75], v[6:7], v[22:23]
	v_add_f64_e32 v[68:69], v[12:13], v[24:25]
	v_add_f64_e32 v[52:53], v[24:25], v[28:29]
	v_add_f64_e32 v[54:55], v[26:27], v[30:31]
	v_add_f64_e64 v[70:71], v[26:27], -v[30:31]
	v_add_f64_e32 v[26:27], v[14:15], v[26:27]
	v_add_f64_e32 v[60:61], v[44:45], v[48:49]
	;; [unrolled: 1-line block ×5, first 2 shown]
	v_add_f64_e64 v[24:25], v[24:25], -v[28:29]
	v_add_f64_e64 v[46:47], v[46:47], -v[50:51]
	;; [unrolled: 1-line block ×3, first 2 shown]
	v_fma_f64 v[52:53], v[52:53], -0.5, v[12:13]
	v_fma_f64 v[54:55], v[54:55], -0.5, v[14:15]
	;; [unrolled: 1-line block ×4, first 2 shown]
	v_add_f64_e32 v[12:13], v[76:77], v[48:49]
	v_add_f64_e32 v[14:15], v[78:79], v[50:51]
	s_delay_alu instid0(VALU_DEP_4)
	v_fma_f64 v[44:45], v[46:47], s[2:3], v[60:61]
	s_wait_alu 0xfffe
	v_fma_f64 v[48:49], v[46:47], s[10:11], v[60:61]
	v_fma_f64 v[46:47], v[88:89], s[10:11], v[62:63]
	;; [unrolled: 1-line block ×3, first 2 shown]
	s_wait_loadcnt 0x0
	v_mul_f64_e32 v[64:65], v[104:105], v[34:35]
	v_mul_f64_e32 v[66:67], v[104:105], v[32:33]
	scratch_load_b128 v[104:107], off, off offset:316 th:TH_LOAD_LU ; 16-byte Folded Reload
	v_fma_f64 v[32:33], v[102:103], v[32:33], v[64:65]
	v_fma_f64 v[34:35], v[102:103], v[34:35], -v[66:67]
	s_delay_alu instid0(VALU_DEP_2) | instskip(NEXT) | instid1(VALU_DEP_2)
	v_add_f64_e32 v[56:57], v[20:21], v[32:33]
	v_add_f64_e32 v[58:59], v[22:23], v[34:35]
	v_add_f64_e64 v[84:85], v[22:23], -v[34:35]
	v_add_f64_e64 v[86:87], v[20:21], -v[32:33]
	v_fma_f64 v[20:21], v[70:71], s[2:3], v[52:53]
	v_fma_f64 v[22:23], v[24:25], s[10:11], v[54:55]
	v_fma_f64 v[56:57], v[56:57], -0.5, v[4:5]
	v_fma_f64 v[58:59], v[58:59], -0.5, v[6:7]
	v_add_f64_e32 v[4:5], v[68:69], v[28:29]
	v_add_f64_e32 v[6:7], v[26:27], v[30:31]
	s_wait_loadcnt_dscnt 0x0
	v_mul_f64_e32 v[80:81], v[106:107], v[42:43]
	v_mul_f64_e32 v[82:83], v[106:107], v[40:41]
	s_delay_alu instid0(VALU_DEP_2) | instskip(NEXT) | instid1(VALU_DEP_2)
	v_fma_f64 v[40:41], v[104:105], v[40:41], v[80:81]
	v_fma_f64 v[42:43], v[104:105], v[42:43], -v[82:83]
	v_add_f64_e32 v[80:81], v[8:9], v[36:37]
	v_add_f64_e32 v[82:83], v[10:11], v[38:39]
	s_delay_alu instid0(VALU_DEP_4) | instskip(NEXT) | instid1(VALU_DEP_4)
	v_add_f64_e32 v[64:65], v[36:37], v[40:41]
	v_add_f64_e32 v[66:67], v[38:39], v[42:43]
	v_add_f64_e64 v[90:91], v[38:39], -v[42:43]
	v_add_f64_e64 v[92:93], v[36:37], -v[40:41]
	v_add_f64_e32 v[16:17], v[80:81], v[40:41]
	v_add_f64_e32 v[18:19], v[82:83], v[42:43]
	v_fma_f64 v[36:37], v[84:85], s[2:3], v[56:57]
	v_fma_f64 v[38:39], v[86:87], s[10:11], v[58:59]
	;; [unrolled: 1-line block ×4, first 2 shown]
	v_fma_f64 v[64:65], v[64:65], -0.5, v[8:9]
	v_fma_f64 v[66:67], v[66:67], -0.5, v[10:11]
	v_add_f64_e32 v[8:9], v[72:73], v[32:33]
	v_add_f64_e32 v[10:11], v[74:75], v[34:35]
	v_fma_f64 v[32:33], v[70:71], s[10:11], v[52:53]
	v_fma_f64 v[34:35], v[24:25], s[2:3], v[54:55]
	;; [unrolled: 1-line block ×6, first 2 shown]
	ds_store_b128 v255, v[4:7]
	ds_store_b128 v255, v[8:11] offset:816
	ds_store_b128 v255, v[12:15] offset:1632
	;; [unrolled: 1-line block ×11, first 2 shown]
	s_and_saveexec_b32 s1, s0
	s_cbranch_execz .LBB0_21
; %bb.20:
	s_clause 0x3
	scratch_load_b128 v[16:19], off, off offset:364 th:TH_LOAD_LU
	scratch_load_b128 v[24:27], off, off offset:60 th:TH_LOAD_LU
	scratch_load_b128 v[12:15], off, off offset:348 th:TH_LOAD_LU
	scratch_load_b128 v[20:23], off, off offset:44 th:TH_LOAD_LU
	s_wait_loadcnt 0x2
	v_mul_f64_e32 v[4:5], v[18:19], v[24:25]
	s_wait_loadcnt 0x0
	v_mul_f64_e32 v[6:7], v[14:15], v[20:21]
	v_mul_f64_e32 v[8:9], v[18:19], v[26:27]
	;; [unrolled: 1-line block ×3, first 2 shown]
	s_delay_alu instid0(VALU_DEP_4) | instskip(NEXT) | instid1(VALU_DEP_4)
	v_fma_f64 v[4:5], v[16:17], v[26:27], -v[4:5]
	v_fma_f64 v[6:7], v[12:13], v[22:23], -v[6:7]
	s_delay_alu instid0(VALU_DEP_4) | instskip(NEXT) | instid1(VALU_DEP_4)
	v_fma_f64 v[8:9], v[16:17], v[24:25], v[8:9]
	v_fma_f64 v[10:11], v[12:13], v[20:21], v[10:11]
	s_delay_alu instid0(VALU_DEP_4) | instskip(NEXT) | instid1(VALU_DEP_4)
	v_add_f64_e32 v[18:19], v[2:3], v[4:5]
	v_add_f64_e32 v[12:13], v[4:5], v[6:7]
	v_add_f64_e64 v[4:5], v[4:5], -v[6:7]
	s_delay_alu instid0(VALU_DEP_4)
	v_add_f64_e32 v[14:15], v[8:9], v[10:11]
	v_add_f64_e64 v[16:17], v[8:9], -v[10:11]
	v_add_f64_e32 v[8:9], v[0:1], v[8:9]
	v_fma_f64 v[12:13], v[12:13], -0.5, v[2:3]
	v_add_f64_e32 v[2:3], v[18:19], v[6:7]
	v_fma_f64 v[14:15], v[14:15], -0.5, v[0:1]
	s_delay_alu instid0(VALU_DEP_4) | instskip(NEXT) | instid1(VALU_DEP_4)
	v_add_f64_e32 v[0:1], v[8:9], v[10:11]
	v_fma_f64 v[10:11], v[16:17], s[10:11], v[12:13]
	v_fma_f64 v[6:7], v[16:17], s[2:3], v[12:13]
	s_delay_alu instid0(VALU_DEP_4)
	v_fma_f64 v[8:9], v[4:5], s[2:3], v[14:15]
	v_fma_f64 v[4:5], v[4:5], s[10:11], v[14:15]
	ds_store_b128 v255, v[0:3] offset:3264
	ds_store_b128 v255, v[8:11] offset:6800
	;; [unrolled: 1-line block ×3, first 2 shown]
.LBB0_21:
	s_wait_alu 0xfffe
	s_or_b32 exec_lo, exec_lo, s1
	global_wb scope:SCOPE_SE
	s_wait_storecnt_dscnt 0x0
	s_barrier_signal -1
	s_barrier_wait -1
	global_inv scope:SCOPE_SE
	s_and_b32 exec_lo, exec_lo, vcc_lo
	s_cbranch_execz .LBB0_23
; %bb.22:
	global_load_b128 v[0:3], v255, s[8:9]
	ds_load_b128 v[4:7], v255
	ds_load_b128 v[8:11], v255 offset:624
	ds_load_b128 v[12:15], v255 offset:9984
	s_mov_b32 s0, 0x18b64019
	s_mov_b32 s1, 0x3f58b640
	s_mul_u64 s[2:3], s[4:5], 0x270
	scratch_load_b32 v19, off, off th:TH_LOAD_LU ; 4-byte Folded Reload
	s_wait_loadcnt_dscnt 0x102
	v_mul_f64_e32 v[16:17], v[6:7], v[2:3]
	v_mul_f64_e32 v[2:3], v[4:5], v[2:3]
	s_delay_alu instid0(VALU_DEP_2) | instskip(NEXT) | instid1(VALU_DEP_2)
	v_fma_f64 v[4:5], v[4:5], v[0:1], v[16:17]
	v_fma_f64 v[2:3], v[0:1], v[6:7], -v[2:3]
	scratch_load_b64 v[0:1], off, off offset:4 th:TH_LOAD_LU ; 8-byte Folded Reload
	s_wait_loadcnt 0x1
	v_mad_co_u64_u32 v[16:17], null, s4, v19, 0
	s_wait_alu 0xfffe
	v_mul_f64_e32 v[2:3], s[0:1], v[2:3]
	s_wait_loadcnt 0x0
	v_mov_b32_e32 v18, v0
	v_mul_f64_e32 v[0:1], s[0:1], v[4:5]
	s_delay_alu instid0(VALU_DEP_4) | instskip(NEXT) | instid1(VALU_DEP_3)
	v_mov_b32_e32 v5, v17
	v_mad_co_u64_u32 v[6:7], null, s6, v18, 0
	s_delay_alu instid0(VALU_DEP_1) | instskip(NEXT) | instid1(VALU_DEP_1)
	v_mov_b32_e32 v4, v7
	v_mad_co_u64_u32 v[17:18], null, s7, v18, v[4:5]
	s_delay_alu instid0(VALU_DEP_3) | instskip(NEXT) | instid1(VALU_DEP_2)
	v_mad_co_u64_u32 v[4:5], null, s5, v19, v[5:6]
	v_mov_b32_e32 v7, v17
	s_delay_alu instid0(VALU_DEP_2) | instskip(NEXT) | instid1(VALU_DEP_2)
	v_mov_b32_e32 v17, v4
	v_lshlrev_b64_e32 v[4:5], 4, v[6:7]
	s_delay_alu instid0(VALU_DEP_2) | instskip(NEXT) | instid1(VALU_DEP_2)
	v_lshlrev_b64_e32 v[6:7], 4, v[16:17]
	v_add_co_u32 v4, vcc_lo, s12, v4
	s_delay_alu instid0(VALU_DEP_3) | instskip(NEXT) | instid1(VALU_DEP_2)
	v_add_co_ci_u32_e32 v5, vcc_lo, s13, v5, vcc_lo
	v_add_co_u32 v4, vcc_lo, v4, v6
	s_wait_alu 0xfffd
	s_delay_alu instid0(VALU_DEP_2) | instskip(NEXT) | instid1(VALU_DEP_2)
	v_add_co_ci_u32_e32 v5, vcc_lo, v5, v7, vcc_lo
	v_add_co_u32 v16, vcc_lo, v4, s2
	global_store_b128 v[4:5], v[0:3], off
	s_wait_alu 0xfffd
	v_add_co_ci_u32_e32 v17, vcc_lo, s3, v5, vcc_lo
	global_load_b128 v[0:3], v255, s[8:9] offset:624
	s_wait_loadcnt_dscnt 0x1
	v_mul_f64_e32 v[6:7], v[10:11], v[2:3]
	v_mul_f64_e32 v[2:3], v[8:9], v[2:3]
	s_delay_alu instid0(VALU_DEP_2) | instskip(NEXT) | instid1(VALU_DEP_2)
	v_fma_f64 v[6:7], v[8:9], v[0:1], v[6:7]
	v_fma_f64 v[2:3], v[0:1], v[10:11], -v[2:3]
	s_delay_alu instid0(VALU_DEP_2) | instskip(NEXT) | instid1(VALU_DEP_2)
	v_mul_f64_e32 v[0:1], s[0:1], v[6:7]
	v_mul_f64_e32 v[2:3], s[0:1], v[2:3]
	global_store_b128 v[16:17], v[0:3], off
	global_load_b128 v[0:3], v255, s[8:9] offset:1248
	ds_load_b128 v[4:7], v255 offset:1248
	ds_load_b128 v[8:11], v255 offset:1872
	s_wait_loadcnt_dscnt 0x1
	v_mul_f64_e32 v[18:19], v[6:7], v[2:3]
	v_mul_f64_e32 v[2:3], v[4:5], v[2:3]
	s_delay_alu instid0(VALU_DEP_2) | instskip(NEXT) | instid1(VALU_DEP_2)
	v_fma_f64 v[4:5], v[4:5], v[0:1], v[18:19]
	v_fma_f64 v[2:3], v[0:1], v[6:7], -v[2:3]
	s_delay_alu instid0(VALU_DEP_2) | instskip(NEXT) | instid1(VALU_DEP_2)
	v_mul_f64_e32 v[0:1], s[0:1], v[4:5]
	v_mul_f64_e32 v[2:3], s[0:1], v[2:3]
	v_add_co_u32 v4, vcc_lo, v16, s2
	s_wait_alu 0xfffd
	v_add_co_ci_u32_e32 v5, vcc_lo, s3, v17, vcc_lo
	s_delay_alu instid0(VALU_DEP_2) | instskip(SKIP_1) | instid1(VALU_DEP_2)
	v_add_co_u32 v16, vcc_lo, v4, s2
	s_wait_alu 0xfffd
	v_add_co_ci_u32_e32 v17, vcc_lo, s3, v5, vcc_lo
	global_store_b128 v[4:5], v[0:3], off
	global_load_b128 v[0:3], v255, s[8:9] offset:1872
	s_wait_loadcnt_dscnt 0x0
	v_mul_f64_e32 v[6:7], v[10:11], v[2:3]
	v_mul_f64_e32 v[2:3], v[8:9], v[2:3]
	s_delay_alu instid0(VALU_DEP_2) | instskip(NEXT) | instid1(VALU_DEP_2)
	v_fma_f64 v[6:7], v[8:9], v[0:1], v[6:7]
	v_fma_f64 v[2:3], v[0:1], v[10:11], -v[2:3]
	s_delay_alu instid0(VALU_DEP_2) | instskip(NEXT) | instid1(VALU_DEP_2)
	v_mul_f64_e32 v[0:1], s[0:1], v[6:7]
	v_mul_f64_e32 v[2:3], s[0:1], v[2:3]
	global_store_b128 v[16:17], v[0:3], off
	global_load_b128 v[0:3], v255, s[8:9] offset:2496
	ds_load_b128 v[4:7], v255 offset:2496
	ds_load_b128 v[8:11], v255 offset:3120
	s_wait_loadcnt_dscnt 0x1
	v_mul_f64_e32 v[18:19], v[6:7], v[2:3]
	v_mul_f64_e32 v[2:3], v[4:5], v[2:3]
	s_delay_alu instid0(VALU_DEP_2) | instskip(NEXT) | instid1(VALU_DEP_2)
	v_fma_f64 v[4:5], v[4:5], v[0:1], v[18:19]
	v_fma_f64 v[2:3], v[0:1], v[6:7], -v[2:3]
	s_delay_alu instid0(VALU_DEP_2) | instskip(NEXT) | instid1(VALU_DEP_2)
	v_mul_f64_e32 v[0:1], s[0:1], v[4:5]
	v_mul_f64_e32 v[2:3], s[0:1], v[2:3]
	v_add_co_u32 v4, vcc_lo, v16, s2
	s_wait_alu 0xfffd
	v_add_co_ci_u32_e32 v5, vcc_lo, s3, v17, vcc_lo
	s_delay_alu instid0(VALU_DEP_2) | instskip(SKIP_1) | instid1(VALU_DEP_2)
	v_add_co_u32 v16, vcc_lo, v4, s2
	s_wait_alu 0xfffd
	v_add_co_ci_u32_e32 v17, vcc_lo, s3, v5, vcc_lo
	global_store_b128 v[4:5], v[0:3], off
	;; [unrolled: 31-line block ×6, first 2 shown]
	global_load_b128 v[0:3], v255, s[8:9] offset:8112
	s_wait_loadcnt_dscnt 0x0
	v_mul_f64_e32 v[6:7], v[10:11], v[2:3]
	v_mul_f64_e32 v[2:3], v[8:9], v[2:3]
	s_delay_alu instid0(VALU_DEP_2) | instskip(NEXT) | instid1(VALU_DEP_2)
	v_fma_f64 v[6:7], v[8:9], v[0:1], v[6:7]
	v_fma_f64 v[2:3], v[0:1], v[10:11], -v[2:3]
	s_delay_alu instid0(VALU_DEP_2) | instskip(NEXT) | instid1(VALU_DEP_2)
	v_mul_f64_e32 v[0:1], s[0:1], v[6:7]
	v_mul_f64_e32 v[2:3], s[0:1], v[2:3]
	global_store_b128 v[16:17], v[0:3], off
	global_load_b128 v[0:3], v255, s[8:9] offset:8736
	ds_load_b128 v[4:7], v255 offset:8736
	ds_load_b128 v[8:11], v255 offset:9360
	s_wait_loadcnt_dscnt 0x1
	v_mul_f64_e32 v[18:19], v[6:7], v[2:3]
	v_mul_f64_e32 v[2:3], v[4:5], v[2:3]
	s_delay_alu instid0(VALU_DEP_2) | instskip(NEXT) | instid1(VALU_DEP_2)
	v_fma_f64 v[4:5], v[4:5], v[0:1], v[18:19]
	v_fma_f64 v[2:3], v[0:1], v[6:7], -v[2:3]
	s_delay_alu instid0(VALU_DEP_2) | instskip(NEXT) | instid1(VALU_DEP_2)
	v_mul_f64_e32 v[0:1], s[0:1], v[4:5]
	v_mul_f64_e32 v[2:3], s[0:1], v[2:3]
	v_add_co_u32 v4, vcc_lo, v16, s2
	s_wait_alu 0xfffd
	v_add_co_ci_u32_e32 v5, vcc_lo, s3, v17, vcc_lo
	global_store_b128 v[4:5], v[0:3], off
	global_load_b128 v[0:3], v255, s[8:9] offset:9360
	v_add_co_u32 v4, vcc_lo, v4, s2
	s_wait_alu 0xfffd
	v_add_co_ci_u32_e32 v5, vcc_lo, s3, v5, vcc_lo
	s_wait_loadcnt_dscnt 0x0
	v_mul_f64_e32 v[6:7], v[10:11], v[2:3]
	v_mul_f64_e32 v[2:3], v[8:9], v[2:3]
	s_delay_alu instid0(VALU_DEP_2) | instskip(NEXT) | instid1(VALU_DEP_2)
	v_fma_f64 v[6:7], v[8:9], v[0:1], v[6:7]
	v_fma_f64 v[2:3], v[0:1], v[10:11], -v[2:3]
	s_delay_alu instid0(VALU_DEP_2) | instskip(NEXT) | instid1(VALU_DEP_2)
	v_mul_f64_e32 v[0:1], s[0:1], v[6:7]
	v_mul_f64_e32 v[2:3], s[0:1], v[2:3]
	global_store_b128 v[4:5], v[0:3], off
	global_load_b128 v[0:3], v255, s[8:9] offset:9984
	v_add_co_u32 v4, vcc_lo, v4, s2
	s_wait_alu 0xfffd
	v_add_co_ci_u32_e32 v5, vcc_lo, s3, v5, vcc_lo
	s_wait_loadcnt 0x0
	v_mul_f64_e32 v[6:7], v[14:15], v[2:3]
	v_mul_f64_e32 v[2:3], v[12:13], v[2:3]
	s_delay_alu instid0(VALU_DEP_2) | instskip(NEXT) | instid1(VALU_DEP_2)
	v_fma_f64 v[6:7], v[12:13], v[0:1], v[6:7]
	v_fma_f64 v[2:3], v[0:1], v[14:15], -v[2:3]
	s_delay_alu instid0(VALU_DEP_2) | instskip(NEXT) | instid1(VALU_DEP_2)
	v_mul_f64_e32 v[0:1], s[0:1], v[6:7]
	v_mul_f64_e32 v[2:3], s[0:1], v[2:3]
	global_store_b128 v[4:5], v[0:3], off
.LBB0_23:
	s_endpgm
	.section	.rodata,"a",@progbits
	.p2align	6, 0x0
	.amdhsa_kernel bluestein_single_back_len663_dim1_dp_op_CI_CI
		.amdhsa_group_segment_fixed_size 10608
		.amdhsa_private_segment_fixed_size 384
		.amdhsa_kernarg_size 104
		.amdhsa_user_sgpr_count 2
		.amdhsa_user_sgpr_dispatch_ptr 0
		.amdhsa_user_sgpr_queue_ptr 0
		.amdhsa_user_sgpr_kernarg_segment_ptr 1
		.amdhsa_user_sgpr_dispatch_id 0
		.amdhsa_user_sgpr_private_segment_size 0
		.amdhsa_wavefront_size32 1
		.amdhsa_uses_dynamic_stack 0
		.amdhsa_enable_private_segment 1
		.amdhsa_system_sgpr_workgroup_id_x 1
		.amdhsa_system_sgpr_workgroup_id_y 0
		.amdhsa_system_sgpr_workgroup_id_z 0
		.amdhsa_system_sgpr_workgroup_info 0
		.amdhsa_system_vgpr_workitem_id 0
		.amdhsa_next_free_vgpr 256
		.amdhsa_next_free_sgpr 58
		.amdhsa_reserve_vcc 1
		.amdhsa_float_round_mode_32 0
		.amdhsa_float_round_mode_16_64 0
		.amdhsa_float_denorm_mode_32 3
		.amdhsa_float_denorm_mode_16_64 3
		.amdhsa_fp16_overflow 0
		.amdhsa_workgroup_processor_mode 1
		.amdhsa_memory_ordered 1
		.amdhsa_forward_progress 0
		.amdhsa_round_robin_scheduling 0
		.amdhsa_exception_fp_ieee_invalid_op 0
		.amdhsa_exception_fp_denorm_src 0
		.amdhsa_exception_fp_ieee_div_zero 0
		.amdhsa_exception_fp_ieee_overflow 0
		.amdhsa_exception_fp_ieee_underflow 0
		.amdhsa_exception_fp_ieee_inexact 0
		.amdhsa_exception_int_div_zero 0
	.end_amdhsa_kernel
	.text
.Lfunc_end0:
	.size	bluestein_single_back_len663_dim1_dp_op_CI_CI, .Lfunc_end0-bluestein_single_back_len663_dim1_dp_op_CI_CI
                                        ; -- End function
	.section	.AMDGPU.csdata,"",@progbits
; Kernel info:
; codeLenInByte = 26012
; NumSgprs: 60
; NumVgprs: 256
; ScratchSize: 384
; MemoryBound: 0
; FloatMode: 240
; IeeeMode: 1
; LDSByteSize: 10608 bytes/workgroup (compile time only)
; SGPRBlocks: 7
; VGPRBlocks: 31
; NumSGPRsForWavesPerEU: 60
; NumVGPRsForWavesPerEU: 256
; Occupancy: 5
; WaveLimiterHint : 1
; COMPUTE_PGM_RSRC2:SCRATCH_EN: 1
; COMPUTE_PGM_RSRC2:USER_SGPR: 2
; COMPUTE_PGM_RSRC2:TRAP_HANDLER: 0
; COMPUTE_PGM_RSRC2:TGID_X_EN: 1
; COMPUTE_PGM_RSRC2:TGID_Y_EN: 0
; COMPUTE_PGM_RSRC2:TGID_Z_EN: 0
; COMPUTE_PGM_RSRC2:TIDIG_COMP_CNT: 0
	.text
	.p2alignl 7, 3214868480
	.fill 96, 4, 3214868480
	.type	__hip_cuid_6587ebe9d85a3d36,@object ; @__hip_cuid_6587ebe9d85a3d36
	.section	.bss,"aw",@nobits
	.globl	__hip_cuid_6587ebe9d85a3d36
__hip_cuid_6587ebe9d85a3d36:
	.byte	0                               ; 0x0
	.size	__hip_cuid_6587ebe9d85a3d36, 1

	.ident	"AMD clang version 19.0.0git (https://github.com/RadeonOpenCompute/llvm-project roc-6.4.0 25133 c7fe45cf4b819c5991fe208aaa96edf142730f1d)"
	.section	".note.GNU-stack","",@progbits
	.addrsig
	.addrsig_sym __hip_cuid_6587ebe9d85a3d36
	.amdgpu_metadata
---
amdhsa.kernels:
  - .args:
      - .actual_access:  read_only
        .address_space:  global
        .offset:         0
        .size:           8
        .value_kind:     global_buffer
      - .actual_access:  read_only
        .address_space:  global
        .offset:         8
        .size:           8
        .value_kind:     global_buffer
      - .actual_access:  read_only
        .address_space:  global
        .offset:         16
        .size:           8
        .value_kind:     global_buffer
      - .actual_access:  read_only
        .address_space:  global
        .offset:         24
        .size:           8
        .value_kind:     global_buffer
      - .actual_access:  read_only
        .address_space:  global
        .offset:         32
        .size:           8
        .value_kind:     global_buffer
      - .offset:         40
        .size:           8
        .value_kind:     by_value
      - .address_space:  global
        .offset:         48
        .size:           8
        .value_kind:     global_buffer
      - .address_space:  global
        .offset:         56
        .size:           8
        .value_kind:     global_buffer
      - .address_space:  global
        .offset:         64
        .size:           8
        .value_kind:     global_buffer
      - .address_space:  global
        .offset:         72
        .size:           8
        .value_kind:     global_buffer
      - .offset:         80
        .size:           4
        .value_kind:     by_value
      - .address_space:  global
        .offset:         88
        .size:           8
        .value_kind:     global_buffer
      - .address_space:  global
        .offset:         96
        .size:           8
        .value_kind:     global_buffer
    .group_segment_fixed_size: 10608
    .kernarg_segment_align: 8
    .kernarg_segment_size: 104
    .language:       OpenCL C
    .language_version:
      - 2
      - 0
    .max_flat_workgroup_size: 51
    .name:           bluestein_single_back_len663_dim1_dp_op_CI_CI
    .private_segment_fixed_size: 384
    .sgpr_count:     60
    .sgpr_spill_count: 0
    .symbol:         bluestein_single_back_len663_dim1_dp_op_CI_CI.kd
    .uniform_work_group_size: 1
    .uses_dynamic_stack: false
    .vgpr_count:     256
    .vgpr_spill_count: 137
    .wavefront_size: 32
    .workgroup_processor_mode: 1
amdhsa.target:   amdgcn-amd-amdhsa--gfx1201
amdhsa.version:
  - 1
  - 2
...

	.end_amdgpu_metadata
